;; amdgpu-corpus repo=ROCm/rocFFT kind=compiled arch=gfx906 opt=O3
	.text
	.amdgcn_target "amdgcn-amd-amdhsa--gfx906"
	.amdhsa_code_object_version 6
	.protected	fft_rtc_fwd_len1701_factors_3_3_3_3_3_7_wgs_63_tpt_63_halfLds_half_op_CI_CI_sbrr_dirReg ; -- Begin function fft_rtc_fwd_len1701_factors_3_3_3_3_3_7_wgs_63_tpt_63_halfLds_half_op_CI_CI_sbrr_dirReg
	.globl	fft_rtc_fwd_len1701_factors_3_3_3_3_3_7_wgs_63_tpt_63_halfLds_half_op_CI_CI_sbrr_dirReg
	.p2align	8
	.type	fft_rtc_fwd_len1701_factors_3_3_3_3_3_7_wgs_63_tpt_63_halfLds_half_op_CI_CI_sbrr_dirReg,@function
fft_rtc_fwd_len1701_factors_3_3_3_3_3_7_wgs_63_tpt_63_halfLds_half_op_CI_CI_sbrr_dirReg: ; @fft_rtc_fwd_len1701_factors_3_3_3_3_3_7_wgs_63_tpt_63_halfLds_half_op_CI_CI_sbrr_dirReg
; %bb.0:
	s_load_dwordx4 s[16:19], s[4:5], 0x18
	s_load_dwordx4 s[8:11], s[4:5], 0x0
	;; [unrolled: 1-line block ×3, first 2 shown]
	v_mul_u32_u24_e32 v1, 0x411, v0
	v_mov_b32_e32 v7, 0
	s_waitcnt lgkmcnt(0)
	s_load_dwordx2 s[20:21], s[16:17], 0x0
	s_load_dwordx2 s[2:3], s[18:19], 0x0
	v_cmp_lt_u64_e64 s[0:1], s[10:11], 2
	v_mov_b32_e32 v5, 0
	v_add_u32_sdwa v9, s6, v1 dst_sel:DWORD dst_unused:UNUSED_PAD src0_sel:DWORD src1_sel:WORD_1
	v_mov_b32_e32 v10, v7
	s_and_b64 vcc, exec, s[0:1]
	v_mov_b32_e32 v6, 0
	s_cbranch_vccnz .LBB0_8
; %bb.1:
	s_load_dwordx2 s[0:1], s[4:5], 0x10
	s_add_u32 s6, s18, 8
	s_addc_u32 s7, s19, 0
	s_add_u32 s22, s16, 8
	s_addc_u32 s23, s17, 0
	v_mov_b32_e32 v5, 0
	s_waitcnt lgkmcnt(0)
	s_add_u32 s24, s0, 8
	v_mov_b32_e32 v6, 0
	v_mov_b32_e32 v1, v5
	s_addc_u32 s25, s1, 0
	s_mov_b64 s[26:27], 1
	v_mov_b32_e32 v2, v6
.LBB0_2:                                ; =>This Inner Loop Header: Depth=1
	s_load_dwordx2 s[28:29], s[24:25], 0x0
                                        ; implicit-def: $vgpr3_vgpr4
	s_waitcnt lgkmcnt(0)
	v_or_b32_e32 v8, s29, v10
	v_cmp_ne_u64_e32 vcc, 0, v[7:8]
	s_and_saveexec_b64 s[0:1], vcc
	s_xor_b64 s[30:31], exec, s[0:1]
	s_cbranch_execz .LBB0_4
; %bb.3:                                ;   in Loop: Header=BB0_2 Depth=1
	v_cvt_f32_u32_e32 v3, s28
	v_cvt_f32_u32_e32 v4, s29
	s_sub_u32 s0, 0, s28
	s_subb_u32 s1, 0, s29
	v_mac_f32_e32 v3, 0x4f800000, v4
	v_rcp_f32_e32 v3, v3
	v_mul_f32_e32 v3, 0x5f7ffffc, v3
	v_mul_f32_e32 v4, 0x2f800000, v3
	v_trunc_f32_e32 v4, v4
	v_mac_f32_e32 v3, 0xcf800000, v4
	v_cvt_u32_f32_e32 v4, v4
	v_cvt_u32_f32_e32 v3, v3
	v_mul_lo_u32 v8, s0, v4
	v_mul_hi_u32 v11, s0, v3
	v_mul_lo_u32 v13, s1, v3
	v_mul_lo_u32 v12, s0, v3
	v_add_u32_e32 v8, v11, v8
	v_add_u32_e32 v8, v8, v13
	v_mul_hi_u32 v11, v3, v12
	v_mul_lo_u32 v13, v3, v8
	v_mul_hi_u32 v15, v3, v8
	v_mul_hi_u32 v14, v4, v12
	v_mul_lo_u32 v12, v4, v12
	v_mul_hi_u32 v16, v4, v8
	v_add_co_u32_e32 v11, vcc, v11, v13
	v_addc_co_u32_e32 v13, vcc, 0, v15, vcc
	v_mul_lo_u32 v8, v4, v8
	v_add_co_u32_e32 v11, vcc, v11, v12
	v_addc_co_u32_e32 v11, vcc, v13, v14, vcc
	v_addc_co_u32_e32 v12, vcc, 0, v16, vcc
	v_add_co_u32_e32 v8, vcc, v11, v8
	v_addc_co_u32_e32 v11, vcc, 0, v12, vcc
	v_add_co_u32_e32 v3, vcc, v3, v8
	v_addc_co_u32_e32 v4, vcc, v4, v11, vcc
	v_mul_lo_u32 v8, s0, v4
	v_mul_hi_u32 v11, s0, v3
	v_mul_lo_u32 v12, s1, v3
	v_mul_lo_u32 v13, s0, v3
	v_add_u32_e32 v8, v11, v8
	v_add_u32_e32 v8, v8, v12
	v_mul_lo_u32 v14, v3, v8
	v_mul_hi_u32 v15, v3, v13
	v_mul_hi_u32 v16, v3, v8
	;; [unrolled: 1-line block ×3, first 2 shown]
	v_mul_lo_u32 v13, v4, v13
	v_mul_hi_u32 v11, v4, v8
	v_add_co_u32_e32 v14, vcc, v15, v14
	v_addc_co_u32_e32 v15, vcc, 0, v16, vcc
	v_mul_lo_u32 v8, v4, v8
	v_add_co_u32_e32 v13, vcc, v14, v13
	v_addc_co_u32_e32 v12, vcc, v15, v12, vcc
	v_addc_co_u32_e32 v11, vcc, 0, v11, vcc
	v_add_co_u32_e32 v8, vcc, v12, v8
	v_addc_co_u32_e32 v11, vcc, 0, v11, vcc
	v_add_co_u32_e32 v8, vcc, v3, v8
	v_addc_co_u32_e32 v11, vcc, v4, v11, vcc
	v_mad_u64_u32 v[3:4], s[0:1], v9, v11, 0
	v_mul_hi_u32 v12, v9, v8
	v_add_co_u32_e32 v13, vcc, v12, v3
	v_addc_co_u32_e32 v14, vcc, 0, v4, vcc
	v_mad_u64_u32 v[3:4], s[0:1], v10, v8, 0
	v_mad_u64_u32 v[11:12], s[0:1], v10, v11, 0
	v_add_co_u32_e32 v3, vcc, v13, v3
	v_addc_co_u32_e32 v3, vcc, v14, v4, vcc
	v_addc_co_u32_e32 v4, vcc, 0, v12, vcc
	v_add_co_u32_e32 v8, vcc, v3, v11
	v_addc_co_u32_e32 v11, vcc, 0, v4, vcc
	v_mul_lo_u32 v12, s29, v8
	v_mul_lo_u32 v13, s28, v11
	v_mad_u64_u32 v[3:4], s[0:1], s28, v8, 0
	v_add3_u32 v4, v4, v13, v12
	v_sub_u32_e32 v12, v10, v4
	v_mov_b32_e32 v13, s29
	v_sub_co_u32_e32 v3, vcc, v9, v3
	v_subb_co_u32_e64 v12, s[0:1], v12, v13, vcc
	v_subrev_co_u32_e64 v13, s[0:1], s28, v3
	v_subbrev_co_u32_e64 v12, s[0:1], 0, v12, s[0:1]
	v_cmp_le_u32_e64 s[0:1], s29, v12
	v_cndmask_b32_e64 v14, 0, -1, s[0:1]
	v_cmp_le_u32_e64 s[0:1], s28, v13
	v_cndmask_b32_e64 v13, 0, -1, s[0:1]
	v_cmp_eq_u32_e64 s[0:1], s29, v12
	v_cndmask_b32_e64 v12, v14, v13, s[0:1]
	v_add_co_u32_e64 v13, s[0:1], 2, v8
	v_addc_co_u32_e64 v14, s[0:1], 0, v11, s[0:1]
	v_add_co_u32_e64 v15, s[0:1], 1, v8
	v_addc_co_u32_e64 v16, s[0:1], 0, v11, s[0:1]
	v_subb_co_u32_e32 v4, vcc, v10, v4, vcc
	v_cmp_ne_u32_e64 s[0:1], 0, v12
	v_cmp_le_u32_e32 vcc, s29, v4
	v_cndmask_b32_e64 v12, v16, v14, s[0:1]
	v_cndmask_b32_e64 v14, 0, -1, vcc
	v_cmp_le_u32_e32 vcc, s28, v3
	v_cndmask_b32_e64 v3, 0, -1, vcc
	v_cmp_eq_u32_e32 vcc, s29, v4
	v_cndmask_b32_e32 v3, v14, v3, vcc
	v_cmp_ne_u32_e32 vcc, 0, v3
	v_cndmask_b32_e64 v3, v15, v13, s[0:1]
	v_cndmask_b32_e32 v4, v11, v12, vcc
	v_cndmask_b32_e32 v3, v8, v3, vcc
.LBB0_4:                                ;   in Loop: Header=BB0_2 Depth=1
	s_andn2_saveexec_b64 s[0:1], s[30:31]
	s_cbranch_execz .LBB0_6
; %bb.5:                                ;   in Loop: Header=BB0_2 Depth=1
	v_cvt_f32_u32_e32 v3, s28
	s_sub_i32 s30, 0, s28
	v_rcp_iflag_f32_e32 v3, v3
	v_mul_f32_e32 v3, 0x4f7ffffe, v3
	v_cvt_u32_f32_e32 v3, v3
	v_mul_lo_u32 v4, s30, v3
	v_mul_hi_u32 v4, v3, v4
	v_add_u32_e32 v3, v3, v4
	v_mul_hi_u32 v3, v9, v3
	v_mul_lo_u32 v4, v3, s28
	v_add_u32_e32 v8, 1, v3
	v_sub_u32_e32 v4, v9, v4
	v_subrev_u32_e32 v11, s28, v4
	v_cmp_le_u32_e32 vcc, s28, v4
	v_cndmask_b32_e32 v4, v4, v11, vcc
	v_cndmask_b32_e32 v3, v3, v8, vcc
	v_add_u32_e32 v8, 1, v3
	v_cmp_le_u32_e32 vcc, s28, v4
	v_cndmask_b32_e32 v3, v3, v8, vcc
	v_mov_b32_e32 v4, v7
.LBB0_6:                                ;   in Loop: Header=BB0_2 Depth=1
	s_or_b64 exec, exec, s[0:1]
	v_mul_lo_u32 v8, v4, s28
	v_mul_lo_u32 v13, v3, s29
	v_mad_u64_u32 v[11:12], s[0:1], v3, s28, 0
	s_load_dwordx2 s[0:1], s[22:23], 0x0
	s_load_dwordx2 s[28:29], s[6:7], 0x0
	v_add3_u32 v8, v12, v13, v8
	v_sub_co_u32_e32 v9, vcc, v9, v11
	v_subb_co_u32_e32 v8, vcc, v10, v8, vcc
	s_waitcnt lgkmcnt(0)
	v_mul_lo_u32 v10, s0, v8
	v_mul_lo_u32 v11, s1, v9
	v_mad_u64_u32 v[5:6], s[0:1], s0, v9, v[5:6]
	v_mul_lo_u32 v8, s28, v8
	v_mul_lo_u32 v12, s29, v9
	v_mad_u64_u32 v[1:2], s[0:1], s28, v9, v[1:2]
	s_add_u32 s26, s26, 1
	s_addc_u32 s27, s27, 0
	s_add_u32 s6, s6, 8
	v_add3_u32 v2, v12, v2, v8
	s_addc_u32 s7, s7, 0
	v_mov_b32_e32 v8, s10
	s_add_u32 s22, s22, 8
	v_mov_b32_e32 v9, s11
	s_addc_u32 s23, s23, 0
	v_cmp_ge_u64_e32 vcc, s[26:27], v[8:9]
	s_add_u32 s24, s24, 8
	v_add3_u32 v6, v11, v6, v10
	s_addc_u32 s25, s25, 0
	s_cbranch_vccnz .LBB0_9
; %bb.7:                                ;   in Loop: Header=BB0_2 Depth=1
	v_mov_b32_e32 v10, v4
	v_mov_b32_e32 v9, v3
	s_branch .LBB0_2
.LBB0_8:
	v_mov_b32_e32 v1, v5
	v_mov_b32_e32 v3, v9
	;; [unrolled: 1-line block ×4, first 2 shown]
.LBB0_9:
	s_load_dwordx2 s[0:1], s[4:5], 0x28
	s_lshl_b64 s[10:11], s[10:11], 3
	s_add_u32 s4, s18, s10
	s_addc_u32 s5, s19, s11
                                        ; implicit-def: $vgpr7
                                        ; implicit-def: $vgpr9
                                        ; implicit-def: $vgpr10
                                        ; implicit-def: $vgpr8
                                        ; implicit-def: $vgpr11
                                        ; implicit-def: $vgpr12
                                        ; implicit-def: $vgpr15
                                        ; implicit-def: $vgpr17
                                        ; implicit-def: $vgpr16
	s_waitcnt lgkmcnt(0)
	v_cmp_gt_u64_e32 vcc, s[0:1], v[3:4]
	v_cmp_le_u64_e64 s[0:1], s[0:1], v[3:4]
	s_and_saveexec_b64 s[6:7], s[0:1]
	s_xor_b64 s[0:1], exec, s[6:7]
	s_cbranch_execz .LBB0_11
; %bb.10:
	s_mov_b32 s6, 0x4104105
	v_mul_hi_u32 v5, v0, s6
	v_mul_u32_u24_e32 v5, 63, v5
	v_sub_u32_e32 v7, v0, v5
	v_add_u32_e32 v9, 63, v7
	v_add_u32_e32 v10, 0x7e, v7
	;; [unrolled: 1-line block ×8, first 2 shown]
                                        ; implicit-def: $vgpr0
                                        ; implicit-def: $vgpr5_vgpr6
.LBB0_11:
	s_or_saveexec_b64 s[6:7], s[0:1]
                                        ; implicit-def: $vgpr27
                                        ; implicit-def: $vgpr18
                                        ; implicit-def: $vgpr28
                                        ; implicit-def: $vgpr13
                                        ; implicit-def: $vgpr29
                                        ; implicit-def: $vgpr14
                                        ; implicit-def: $vgpr71
                                        ; implicit-def: $vgpr31
                                        ; implicit-def: $vgpr66
                                        ; implicit-def: $vgpr30
                                        ; implicit-def: $vgpr73
                                        ; implicit-def: $vgpr41
                                        ; implicit-def: $vgpr63
                                        ; implicit-def: $vgpr22
                                        ; implicit-def: $vgpr74
                                        ; implicit-def: $vgpr42
                                        ; implicit-def: $vgpr69
                                        ; implicit-def: $vgpr40
                                        ; implicit-def: $vgpr61
                                        ; implicit-def: $vgpr21
                                        ; implicit-def: $vgpr67
                                        ; implicit-def: $vgpr52
                                        ; implicit-def: $vgpr62
                                        ; implicit-def: $vgpr25
                                        ; implicit-def: $vgpr60
                                        ; implicit-def: $vgpr24
                                        ; implicit-def: $vgpr64
                                        ; implicit-def: $vgpr51
                                        ; implicit-def: $vgpr70
                                        ; implicit-def: $vgpr53
                                        ; implicit-def: $vgpr65
                                        ; implicit-def: $vgpr57
                                        ; implicit-def: $vgpr72
                                        ; implicit-def: $vgpr58
                                        ; implicit-def: $vgpr68
                                        ; implicit-def: $vgpr26
                                        ; implicit-def: $vgpr75
                                        ; implicit-def: $vgpr54
                                        ; implicit-def: $vgpr76
                                        ; implicit-def: $vgpr55
                                        ; implicit-def: $vgpr77
                                        ; implicit-def: $vgpr56
                                        ; implicit-def: $vgpr78
                                        ; implicit-def: $vgpr43
                                        ; implicit-def: $vgpr79
                                        ; implicit-def: $vgpr23
                                        ; implicit-def: $vgpr80
                                        ; implicit-def: $vgpr44
                                        ; implicit-def: $vgpr81
                                        ; implicit-def: $vgpr19
                                        ; implicit-def: $vgpr83
                                        ; implicit-def: $vgpr32
                                        ; implicit-def: $vgpr82
                                        ; implicit-def: $vgpr20
	s_xor_b64 exec, exec, s[6:7]
	s_cbranch_execz .LBB0_13
; %bb.12:
	s_add_u32 s0, s16, s10
	s_mov_b32 s10, 0x4104105
	v_mul_hi_u32 v7, v0, s10
	s_addc_u32 s1, s17, s11
	s_load_dwordx2 s[0:1], s[0:1], 0x0
	v_lshlrev_b64 v[5:6], 2, v[5:6]
	v_mul_u32_u24_e32 v7, 63, v7
	v_sub_u32_e32 v7, v0, v7
	v_mad_u64_u32 v[8:9], s[10:11], s20, v7, 0
	s_waitcnt lgkmcnt(0)
	v_mul_lo_u32 v14, s1, v3
	v_mul_lo_u32 v15, s0, v4
	v_mad_u64_u32 v[10:11], s[0:1], s0, v3, 0
	v_mov_b32_e32 v0, v9
	v_mad_u64_u32 v[12:13], s[0:1], s21, v7, v[0:1]
	v_add3_u32 v11, v11, v15, v14
	v_lshlrev_b64 v[10:11], 2, v[10:11]
	v_mov_b32_e32 v9, v12
	v_mov_b32_e32 v0, s13
	v_add_co_u32_e64 v12, s[0:1], s12, v10
	v_add_u32_e32 v14, 0x237, v7
	v_addc_co_u32_e64 v13, s[0:1], v0, v11, s[0:1]
	v_mad_u64_u32 v[10:11], s[0:1], s20, v14, 0
	v_add_co_u32_e64 v0, s[0:1], v12, v5
	v_addc_co_u32_e64 v5, s[0:1], v13, v6, s[0:1]
	v_mov_b32_e32 v6, v11
	v_mad_u64_u32 v[11:12], s[0:1], s21, v14, v[6:7]
	v_add_u32_e32 v14, 0x46e, v7
	v_mad_u64_u32 v[12:13], s[0:1], s20, v14, 0
	v_lshlrev_b64 v[8:9], 2, v[8:9]
	v_lshlrev_b64 v[10:11], 2, v[10:11]
	v_add_co_u32_e64 v15, s[0:1], v0, v8
	v_mov_b32_e32 v6, v13
	v_addc_co_u32_e64 v16, s[0:1], v5, v9, s[0:1]
	v_mad_u64_u32 v[8:9], s[0:1], s21, v14, v[6:7]
	v_add_u32_e32 v9, 63, v7
	v_mad_u64_u32 v[17:18], s[0:1], s20, v9, 0
	v_add_co_u32_e64 v21, s[0:1], v0, v10
	v_mov_b32_e32 v13, v8
	v_mov_b32_e32 v6, v18
	v_addc_co_u32_e64 v22, s[0:1], v5, v11, s[0:1]
	v_lshlrev_b64 v[10:11], 2, v[12:13]
	v_mad_u64_u32 v[12:13], s[0:1], s21, v9, v[6:7]
	v_add_u32_e32 v8, 0x276, v7
	v_mad_u64_u32 v[13:14], s[0:1], s20, v8, 0
	v_add_co_u32_e64 v23, s[0:1], v0, v10
	v_mov_b32_e32 v18, v12
	v_mov_b32_e32 v6, v14
	v_addc_co_u32_e64 v24, s[0:1], v5, v11, s[0:1]
	v_lshlrev_b64 v[10:11], 2, v[17:18]
	v_mad_u64_u32 v[17:18], s[0:1], s21, v8, v[6:7]
	v_add_u32_e32 v8, 0x4ad, v7
	v_mad_u64_u32 v[18:19], s[0:1], s20, v8, 0
	v_add_co_u32_e64 v25, s[0:1], v0, v10
	v_mov_b32_e32 v14, v17
	v_mov_b32_e32 v6, v19
	v_add_u32_e32 v10, 0x7e, v7
	v_addc_co_u32_e64 v26, s[0:1], v5, v11, s[0:1]
	v_lshlrev_b64 v[11:12], 2, v[13:14]
	v_mad_u64_u32 v[13:14], s[0:1], s21, v8, v[6:7]
	v_mad_u64_u32 v[27:28], s[0:1], s20, v10, 0
	v_add_co_u32_e64 v11, s[0:1], v0, v11
	v_mov_b32_e32 v19, v13
	v_mov_b32_e32 v6, v28
	v_addc_co_u32_e64 v12, s[0:1], v5, v12, s[0:1]
	v_lshlrev_b64 v[13:14], 2, v[18:19]
	v_mad_u64_u32 v[17:18], s[0:1], s21, v10, v[6:7]
	v_add_u32_e32 v8, 0x2b5, v7
	v_mad_u64_u32 v[18:19], s[0:1], s20, v8, 0
	v_add_co_u32_e64 v33, s[0:1], v0, v13
	v_mov_b32_e32 v28, v17
	v_addc_co_u32_e64 v34, s[0:1], v5, v14, s[0:1]
	v_lshlrev_b64 v[13:14], 2, v[27:28]
	v_mov_b32_e32 v6, v19
	v_mad_u64_u32 v[19:20], s[0:1], s21, v8, v[6:7]
	v_add_co_u32_e64 v27, s[0:1], v0, v13
	v_add_u32_e32 v8, 0x4ec, v7
	v_addc_co_u32_e64 v28, s[0:1], v5, v14, s[0:1]
	v_mad_u64_u32 v[35:36], s[0:1], s20, v8, 0
	v_lshlrev_b64 v[13:14], 2, v[18:19]
	v_add_u32_e32 v51, 0x5a9, v7
	v_add_co_u32_e64 v37, s[0:1], v0, v13
	v_mov_b32_e32 v6, v36
	v_addc_co_u32_e64 v38, s[0:1], v5, v14, s[0:1]
	v_mad_u64_u32 v[17:18], s[0:1], s21, v8, v[6:7]
	v_add_u32_e32 v8, 0xbd, v7
	v_mad_u64_u32 v[39:40], s[0:1], s20, v8, 0
	global_load_dword v18, v[15:16], off
	global_load_dword v13, v[21:22], off
	;; [unrolled: 1-line block ×8, first 2 shown]
	v_add_u32_e32 v21, 0x2f4, v7
	v_mov_b32_e32 v6, v40
	v_mad_u64_u32 v[15:16], s[0:1], s21, v8, v[6:7]
	v_mov_b32_e32 v36, v17
	v_mad_u64_u32 v[16:17], s[0:1], s20, v21, 0
	v_lshlrev_b64 v[11:12], 2, v[35:36]
	v_add_u32_e32 v28, 0x52b, v7
	v_add_co_u32_e64 v24, s[0:1], v0, v11
	v_mov_b32_e32 v6, v17
	v_addc_co_u32_e64 v25, s[0:1], v5, v12, s[0:1]
	v_mad_u64_u32 v[21:22], s[0:1], s21, v21, v[6:7]
	v_mov_b32_e32 v40, v15
	v_mad_u64_u32 v[22:23], s[0:1], s20, v28, 0
	v_lshlrev_b64 v[11:12], 2, v[39:40]
	v_mov_b32_e32 v17, v21
	v_add_co_u32_e64 v26, s[0:1], v0, v11
	v_add_u32_e32 v11, 0xfc, v7
	v_addc_co_u32_e64 v27, s[0:1], v5, v12, s[0:1]
	v_mov_b32_e32 v6, v23
	v_mad_u64_u32 v[33:34], s[0:1], s20, v11, 0
	v_lshlrev_b64 v[15:16], 2, v[16:17]
	v_mad_u64_u32 v[28:29], s[0:1], s21, v28, v[6:7]
	v_add_co_u32_e64 v15, s[0:1], v0, v15
	v_add_u32_e32 v12, 0x333, v7
	v_addc_co_u32_e64 v16, s[0:1], v5, v16, s[0:1]
	v_mov_b32_e32 v6, v34
	v_mad_u64_u32 v[35:36], s[0:1], s20, v12, 0
	v_mov_b32_e32 v23, v28
	v_mad_u64_u32 v[28:29], s[0:1], s21, v11, v[6:7]
	v_lshlrev_b64 v[21:22], 2, v[22:23]
	v_mov_b32_e32 v6, v36
	v_add_co_u32_e64 v37, s[0:1], v0, v21
	v_addc_co_u32_e64 v38, s[0:1], v5, v22, s[0:1]
	v_mov_b32_e32 v34, v28
	v_mad_u64_u32 v[28:29], s[0:1], s21, v12, v[6:7]
	v_add_u32_e32 v12, 0x56a, v7
	v_lshlrev_b64 v[21:22], 2, v[33:34]
	v_mad_u64_u32 v[33:34], s[0:1], s20, v12, 0
	v_add_co_u32_e64 v45, s[0:1], v0, v21
	v_mov_b32_e32 v6, v34
	v_addc_co_u32_e64 v46, s[0:1], v5, v22, s[0:1]
	v_mov_b32_e32 v36, v28
	v_mad_u64_u32 v[28:29], s[0:1], s21, v12, v[6:7]
	v_add_u32_e32 v12, 0x13b, v7
	v_lshlrev_b64 v[21:22], 2, v[35:36]
	v_mad_u64_u32 v[35:36], s[0:1], s20, v12, 0
	v_add_co_u32_e64 v47, s[0:1], v0, v21
	v_mov_b32_e32 v6, v36
	v_addc_co_u32_e64 v48, s[0:1], v5, v22, s[0:1]
	v_mov_b32_e32 v34, v28
	v_mad_u64_u32 v[28:29], s[0:1], s21, v12, v[6:7]
	v_lshlrev_b64 v[21:22], 2, v[33:34]
	v_add_u32_e32 v17, 0x372, v7
	v_add_co_u32_e64 v33, s[0:1], v0, v21
	v_mov_b32_e32 v36, v28
	v_addc_co_u32_e64 v34, s[0:1], v5, v22, s[0:1]
	v_lshlrev_b64 v[21:22], 2, v[35:36]
	v_mad_u64_u32 v[28:29], s[0:1], s20, v17, 0
	v_add_co_u32_e64 v35, s[0:1], v0, v21
	v_addc_co_u32_e64 v36, s[0:1], v5, v22, s[0:1]
	v_mad_u64_u32 v[49:50], s[0:1], s20, v51, 0
	v_mov_b32_e32 v6, v29
	v_mad_u64_u32 v[39:40], s[0:1], s21, v17, v[6:7]
	v_mov_b32_e32 v6, v50
	global_load_dword v41, v[24:25], off
	global_load_dword v22, v[26:27], off
	;; [unrolled: 1-line block ×8, first 2 shown]
	v_mad_u64_u32 v[24:25], s[0:1], s21, v51, v[6:7]
	v_add_u32_e32 v15, 0x17a, v7
	v_mad_u64_u32 v[25:26], s[0:1], s20, v15, 0
	v_mov_b32_e32 v29, v39
	v_lshlrev_b64 v[16:17], 2, v[28:29]
	v_mov_b32_e32 v6, v26
	v_add_co_u32_e64 v27, s[0:1], v0, v16
	v_addc_co_u32_e64 v28, s[0:1], v5, v17, s[0:1]
	v_mov_b32_e32 v50, v24
	v_mad_u64_u32 v[33:34], s[0:1], s21, v15, v[6:7]
	v_add_u32_e32 v24, 0x3b1, v7
	v_mad_u64_u32 v[34:35], s[0:1], s20, v24, 0
	v_lshlrev_b64 v[16:17], 2, v[49:50]
	v_mov_b32_e32 v26, v33
	v_add_co_u32_e64 v36, s[0:1], v0, v16
	v_mov_b32_e32 v6, v35
	v_addc_co_u32_e64 v37, s[0:1], v5, v17, s[0:1]
	v_lshlrev_b64 v[16:17], 2, v[25:26]
	v_mad_u64_u32 v[24:25], s[0:1], s21, v24, v[6:7]
	v_add_u32_e32 v29, 0x5e8, v7
	v_mad_u64_u32 v[25:26], s[0:1], s20, v29, 0
	v_add_co_u32_e64 v38, s[0:1], v0, v16
	v_mov_b32_e32 v6, v26
	v_addc_co_u32_e64 v39, s[0:1], v5, v17, s[0:1]
	v_mad_u64_u32 v[16:17], s[0:1], s21, v29, v[6:7]
	v_add_u32_e32 v17, 0x1b9, v7
	v_mad_u64_u32 v[45:46], s[0:1], s20, v17, 0
	v_mov_b32_e32 v35, v24
	v_lshlrev_b64 v[33:34], 2, v[34:35]
	v_mov_b32_e32 v6, v46
	v_add_co_u32_e64 v33, s[0:1], v0, v33
	v_addc_co_u32_e64 v34, s[0:1], v5, v34, s[0:1]
	v_mov_b32_e32 v26, v16
	v_mad_u64_u32 v[46:47], s[0:1], s21, v17, v[6:7]
	v_add_u32_e32 v16, 0x3f0, v7
	v_mad_u64_u32 v[47:48], s[0:1], s20, v16, 0
	v_lshlrev_b64 v[24:25], 2, v[25:26]
	v_add_u32_e32 v29, 0x42f, v7
	v_add_co_u32_e64 v49, s[0:1], v0, v24
	v_mov_b32_e32 v6, v48
	v_addc_co_u32_e64 v50, s[0:1], v5, v25, s[0:1]
	v_lshlrev_b64 v[24:25], 2, v[45:46]
	v_mad_u64_u32 v[45:46], s[0:1], s21, v16, v[6:7]
	v_add_u32_e32 v16, 0x627, v7
	v_mad_u64_u32 v[51:52], s[0:1], s20, v16, 0
	v_add_co_u32_e64 v57, s[0:1], v0, v24
	v_mov_b32_e32 v48, v45
	v_mov_b32_e32 v6, v52
	v_addc_co_u32_e64 v58, s[0:1], v5, v25, s[0:1]
	v_lshlrev_b64 v[24:25], 2, v[47:48]
	v_mad_u64_u32 v[45:46], s[0:1], s21, v16, v[6:7]
	v_add_co_u32_e64 v46, s[0:1], v0, v24
	v_add_u32_e32 v16, 0x1f8, v7
	v_addc_co_u32_e64 v47, s[0:1], v5, v25, s[0:1]
	v_mad_u64_u32 v[59:60], s[0:1], s20, v16, 0
	v_mov_b32_e32 v52, v45
	v_lshlrev_b64 v[24:25], 2, v[51:52]
	v_mov_b32_e32 v6, v60
	v_add_co_u32_e64 v61, s[0:1], v0, v24
	v_addc_co_u32_e64 v62, s[0:1], v5, v25, s[0:1]
	v_mad_u64_u32 v[63:64], s[0:1], s21, v16, v[6:7]
	v_mad_u64_u32 v[64:65], s[0:1], s20, v29, 0
	global_load_dword v52, v[27:28], off
	global_load_dword v56, v[36:37], off
	;; [unrolled: 1-line block ×8, first 2 shown]
	v_mov_b32_e32 v60, v63
	v_mov_b32_e32 v6, v65
	v_mad_u64_u32 v[28:29], s[0:1], s21, v29, v[6:7]
	v_add_u32_e32 v29, 0x666, v7
	v_mad_u64_u32 v[33:34], s[0:1], s20, v29, 0
	v_lshlrev_b64 v[26:27], 2, v[59:60]
	v_mov_b32_e32 v65, v28
	v_add_co_u32_e64 v35, s[0:1], v0, v26
	v_mov_b32_e32 v6, v34
	v_addc_co_u32_e64 v36, s[0:1], v5, v27, s[0:1]
	v_mad_u64_u32 v[28:29], s[0:1], s21, v29, v[6:7]
	v_lshlrev_b64 v[26:27], 2, v[64:65]
	s_waitcnt vmcnt(20)
	v_lshrrev_b32_e32 v82, 16, v20
	v_add_co_u32_e64 v37, s[0:1], v0, v26
	v_mov_b32_e32 v34, v28
	v_addc_co_u32_e64 v38, s[0:1], v5, v27, s[0:1]
	v_lshlrev_b64 v[26:27], 2, v[33:34]
	s_waitcnt vmcnt(19)
	v_lshrrev_b32_e32 v71, 16, v31
	v_add_co_u32_e64 v28, s[0:1], v0, v26
	v_addc_co_u32_e64 v29, s[0:1], v5, v27, s[0:1]
	global_load_dword v26, v[35:36], off
	global_load_dword v57, v[37:38], off
	;; [unrolled: 1-line block ×3, first 2 shown]
	v_lshrrev_b32_e32 v27, 16, v18
	v_lshrrev_b32_e32 v28, 16, v13
	;; [unrolled: 1-line block ×3, first 2 shown]
	s_waitcnt vmcnt(21)
	v_lshrrev_b32_e32 v83, 16, v32
	s_waitcnt vmcnt(20)
	v_lshrrev_b32_e32 v81, 16, v19
	;; [unrolled: 2-line block ×22, first 2 shown]
.LBB0_13:
	s_or_b64 exec, exec, s[6:7]
	v_add_f16_e32 v5, v13, v14
	v_fma_f16 v5, v5, -0.5, v18
	v_sub_f16_e32 v6, v28, v29
	s_movk_i32 s10, 0x3aee
	s_mov_b32 s11, 0xbaee
	v_add_f16_e32 v0, v18, v13
	v_fma_f16 v18, v6, s10, v5
	v_fma_f16 v5, v6, s11, v5
	v_add_f16_e32 v6, v27, v28
	v_add_f16_e32 v84, v6, v29
	;; [unrolled: 1-line block ×3, first 2 shown]
	v_fma_f16 v6, v6, -0.5, v27
	v_sub_f16_e32 v13, v13, v14
	v_fma_f16 v85, v13, s11, v6
	v_fma_f16 v86, v13, s10, v6
	v_add_f16_e32 v13, v31, v32
	v_add_f16_e32 v0, v0, v14
	v_fma_f16 v13, v13, -0.5, v20
	v_sub_f16_e32 v14, v71, v83
	v_add_f16_e32 v6, v31, v20
	v_fma_f16 v20, v14, s10, v13
	v_fma_f16 v14, v14, s11, v13
	v_add_f16_e32 v13, v30, v19
	v_add_f16_e32 v27, v41, v13
	v_add_f16_e32 v13, v30, v41
	v_fma_f16 v13, v13, -0.5, v19
	v_sub_f16_e32 v19, v66, v73
	v_fma_f16 v28, v19, s10, v13
	v_fma_f16 v19, v19, s11, v13
	v_add_f16_e32 v13, v22, v44
	v_add_f16_e32 v29, v42, v13
	v_add_f16_e32 v13, v42, v44
	v_fma_f16 v13, v13, -0.5, v22
	v_sub_f16_e32 v22, v80, v74
	;; [unrolled: 7-line block ×7, first 2 shown]
	v_mad_u32_u24 v87, v7, 6, 0
	s_load_dwordx2 s[4:5], s[4:5], 0x0
	v_add_f16_e32 v6, v32, v6
	v_fma_f16 v48, v26, s10, v13
	v_fma_f16 v26, v26, s11, v13
	ds_write_b16 v87, v0
	ds_write_b16 v87, v18 offset:2
	ds_write_b16 v87, v5 offset:4
	v_mad_i32_i24 v13, v9, 6, 0
	v_mad_i32_i24 v0, v10, 6, 0
	v_mad_i32_i24 v18, v8, 6, 0
	v_mad_i32_i24 v88, v11, 6, 0
	v_mad_i32_i24 v89, v12, 6, 0
	ds_write_b16 v13, v6
	ds_write_b16 v13, v20 offset:2
	ds_write_b16 v13, v14 offset:4
	ds_write_b16 v0, v27
	ds_write_b16 v0, v28 offset:2
	ds_write_b16 v0, v19 offset:4
	;; [unrolled: 3-line block ×5, first 2 shown]
	v_mad_i32_i24 v90, v15, 6, 0
	v_mad_i32_i24 v91, v17, 6, 0
	;; [unrolled: 1-line block ×3, first 2 shown]
	v_lshlrev_b32_e32 v5, 1, v7
	v_lshlrev_b32_e32 v21, 2, v8
	;; [unrolled: 1-line block ×3, first 2 shown]
	ds_write_b16 v90, v38
	ds_write_b16 v90, v39 offset:2
	ds_write_b16 v90, v25 offset:4
	ds_write_b16 v91, v45
	ds_write_b16 v91, v46 offset:2
	ds_write_b16 v91, v24 offset:4
	;; [unrolled: 3-line block ×3, first 2 shown]
	v_add_u32_e32 v14, 0, v5
	v_lshlrev_b32_e32 v23, 2, v9
	v_lshlrev_b32_e32 v20, 2, v10
	v_sub_u32_e32 v27, v18, v21
	v_sub_u32_e32 v28, v88, v6
	v_lshlrev_b32_e32 v6, 2, v12
	v_lshlrev_b32_e32 v24, 2, v15
	;; [unrolled: 1-line block ×4, first 2 shown]
	s_waitcnt lgkmcnt(0)
	; wave barrier
	s_waitcnt lgkmcnt(0)
	v_sub_u32_e32 v19, v13, v23
	v_sub_u32_e32 v22, v0, v20
	;; [unrolled: 1-line block ×3, first 2 shown]
	ds_read_u16 v34, v27
	ds_read_u16 v33, v28
	;; [unrolled: 1-line block ×3, first 2 shown]
	v_sub_u32_e32 v24, v90, v24
	v_sub_u32_e32 v25, v91, v25
	;; [unrolled: 1-line block ×3, first 2 shown]
	ds_read_u16 v93, v14 offset:2520
	ds_read_u16 v94, v14 offset:2646
	;; [unrolled: 1-line block ×4, first 2 shown]
	ds_read_u16 v45, v14
	ds_read_u16 v96, v14 offset:1134
	ds_read_u16 v97, v14 offset:1260
	;; [unrolled: 1-line block ×10, first 2 shown]
	ds_read_u16 v37, v24
	ds_read_u16 v36, v25
	;; [unrolled: 1-line block ×3, first 2 shown]
	ds_read_u16 v103, v14 offset:2394
	ds_read_u16 v104, v14 offset:2268
	;; [unrolled: 1-line block ×3, first 2 shown]
	ds_read_u16 v38, v22
	ds_read_u16 v39, v19
	ds_read_u16 v47, v14 offset:3276
	s_waitcnt lgkmcnt(0)
	; wave barrier
	s_waitcnt lgkmcnt(0)
	ds_write_b16 v87, v84
	ds_write_b16 v87, v85 offset:2
	ds_write_b16 v87, v86 offset:4
	v_add_f16_e32 v84, v71, v82
	v_add_f16_e32 v71, v71, v83
	v_fma_f16 v71, v71, -0.5, v82
	v_sub_f16_e32 v31, v31, v32
	v_fma_f16 v32, v31, s11, v71
	v_fma_f16 v31, v31, s10, v71
	v_add_f16_e32 v71, v66, v81
	v_add_f16_e32 v66, v66, v73
	;; [unrolled: 1-line block ×3, first 2 shown]
	v_fma_f16 v66, v66, -0.5, v81
	v_sub_f16_e32 v30, v30, v41
	v_add_f16_e32 v73, v74, v80
	v_fma_f16 v41, v30, s11, v66
	v_fma_f16 v30, v30, s10, v66
	v_add_f16_e32 v66, v63, v80
	v_fma_f16 v63, v73, -0.5, v63
	v_sub_f16_e32 v42, v44, v42
	v_fma_f16 v44, v42, s11, v63
	v_fma_f16 v42, v42, s10, v63
	v_add_f16_e32 v63, v78, v79
	v_add_f16_e32 v63, v69, v63
	;; [unrolled: 1-line block ×3, first 2 shown]
	v_fma_f16 v69, v69, -0.5, v79
	v_sub_f16_e32 v40, v43, v40
	v_fma_f16 v43, v40, s11, v69
	v_fma_f16 v40, v40, s10, v69
	v_add_f16_e32 v69, v61, v67
	v_add_f16_e32 v67, v67, v77
	v_fma_f16 v61, v67, -0.5, v61
	v_sub_f16_e32 v52, v52, v56
	v_add_f16_e32 v67, v75, v76
	v_fma_f16 v56, v52, s11, v61
	v_fma_f16 v52, v52, s10, v61
	v_add_f16_e32 v61, v62, v76
	v_fma_f16 v62, v67, -0.5, v62
	v_sub_f16_e32 v54, v55, v54
	v_fma_f16 v55, v54, s11, v62
	v_fma_f16 v54, v54, s10, v62
	v_add_f16_e32 v62, v60, v64
	v_add_f16_e32 v64, v64, v70
	v_fma_f16 v60, v64, -0.5, v60
	v_sub_f16_e32 v51, v51, v53
	v_add_f16_e32 v64, v65, v72
	v_add_f16_e32 v84, v83, v84
	v_fma_f16 v53, v51, s11, v60
	v_fma_f16 v51, v51, s10, v60
	v_add_f16_e32 v60, v65, v68
	v_fma_f16 v64, v64, -0.5, v68
	v_sub_f16_e32 v57, v57, v58
	s_movk_i32 s0, 0xab
	v_add_f16_e32 v66, v74, v66
	v_add_f16_e32 v69, v69, v77
	;; [unrolled: 1-line block ×5, first 2 shown]
	v_fma_f16 v58, v57, s11, v64
	v_fma_f16 v57, v57, s10, v64
	ds_write_b16 v13, v84
	ds_write_b16 v13, v32 offset:2
	ds_write_b16 v13, v31 offset:4
	ds_write_b16 v0, v71
	ds_write_b16 v0, v41 offset:2
	ds_write_b16 v0, v30 offset:4
	;; [unrolled: 3-line block ×8, first 2 shown]
	v_mul_lo_u16_sdwa v30, v7, s0 dst_sel:DWORD dst_unused:UNUSED_PAD src0_sel:BYTE_0 src1_sel:DWORD
	v_lshrrev_b16_e32 v32, 9, v30
	v_mul_lo_u16_e32 v30, 3, v32
	v_sub_u16_e32 v40, v7, v30
	v_mov_b32_e32 v30, 3
	v_lshlrev_b32_sdwa v31, v30, v40 dst_sel:DWORD dst_unused:UNUSED_PAD src0_sel:DWORD src1_sel:BYTE_0
	s_waitcnt lgkmcnt(0)
	; wave barrier
	s_waitcnt lgkmcnt(0)
	global_load_dwordx2 v[53:54], v31, s[8:9]
	v_mul_lo_u16_sdwa v31, v9, s0 dst_sel:DWORD dst_unused:UNUSED_PAD src0_sel:BYTE_0 src1_sel:DWORD
	v_lshrrev_b16_e32 v41, 9, v31
	v_mul_lo_u16_e32 v31, 3, v41
	v_sub_u16_e32 v42, v9, v31
	v_lshlrev_b32_sdwa v31, v30, v42 dst_sel:DWORD dst_unused:UNUSED_PAD src0_sel:DWORD src1_sel:BYTE_0
	global_load_dwordx2 v[55:56], v31, s[8:9]
	v_mul_lo_u16_sdwa v31, v10, s0 dst_sel:DWORD dst_unused:UNUSED_PAD src0_sel:BYTE_0 src1_sel:DWORD
	v_lshrrev_b16_e32 v43, 9, v31
	v_mul_lo_u16_e32 v31, 3, v43
	v_sub_u16_e32 v44, v10, v31
	v_lshlrev_b32_sdwa v31, v30, v44 dst_sel:DWORD dst_unused:UNUSED_PAD src0_sel:DWORD src1_sel:BYTE_0
	;; [unrolled: 6-line block ×3, first 2 shown]
	s_mov_b32 s0, 0xaaab
	global_load_dwordx2 v[60:61], v31, s[8:9]
	v_mul_u32_u24_sdwa v31, v11, s0 dst_sel:DWORD dst_unused:UNUSED_PAD src0_sel:WORD_0 src1_sel:DWORD
	v_lshrrev_b32_e32 v72, 17, v31
	v_mul_lo_u16_e32 v31, 3, v72
	v_sub_u16_e32 v73, v11, v31
	v_lshlrev_b32_e32 v31, 3, v73
	global_load_dwordx2 v[62:63], v31, s[8:9]
	v_mul_u32_u24_sdwa v31, v12, s0 dst_sel:DWORD dst_unused:UNUSED_PAD src0_sel:WORD_0 src1_sel:DWORD
	v_lshrrev_b32_e32 v74, 17, v31
	v_mul_lo_u16_e32 v31, 3, v74
	v_sub_u16_e32 v75, v12, v31
	v_lshlrev_b32_e32 v31, 3, v75
	;; [unrolled: 6-line block ×3, first 2 shown]
	global_load_dwordx2 v[66:67], v31, s[8:9]
	v_mul_u32_u24_sdwa v68, v17, s0 dst_sel:DWORD dst_unused:UNUSED_PAD src0_sel:WORD_0 src1_sel:DWORD
	v_lshrrev_b32_e32 v84, 17, v68
	v_mul_lo_u16_e32 v68, 3, v84
	v_mul_u32_u24_sdwa v70, v16, s0 dst_sel:DWORD dst_unused:UNUSED_PAD src0_sel:WORD_0 src1_sel:DWORD
	v_sub_u16_e32 v85, v17, v68
	v_lshrrev_b32_e32 v88, 17, v70
	v_lshlrev_b32_e32 v68, 3, v85
	v_mul_lo_u16_e32 v70, 3, v88
	ds_read_u16 v31, v14 offset:1134
	ds_read_u16 v78, v14 offset:1260
	;; [unrolled: 1-line block ×7, first 2 shown]
	global_load_dwordx2 v[68:69], v68, s[8:9]
	v_sub_u16_e32 v89, v16, v70
	v_lshlrev_b32_e32 v70, 3, v89
	global_load_dwordx2 v[70:71], v70, s[8:9]
	ds_read_u16 v86, v14
	v_mul_u32_u24_e32 v32, 18, v32
	s_mov_b32 s0, 0xe38f
	s_waitcnt vmcnt(8) lgkmcnt(7)
	v_mul_f16_sdwa v87, v31, v53 dst_sel:DWORD dst_unused:UNUSED_PAD src0_sel:DWORD src1_sel:WORD_1
	v_mul_f16_sdwa v90, v96, v53 dst_sel:DWORD dst_unused:UNUSED_PAD src0_sel:DWORD src1_sel:WORD_1
	v_fma_f16 v87, v96, v53, -v87
	v_fma_f16 v31, v31, v53, v90
	ds_read_u16 v53, v14 offset:2268
	ds_read_u16 v90, v14 offset:2394
	;; [unrolled: 1-line block ×7, first 2 shown]
	s_waitcnt lgkmcnt(6)
	v_mul_f16_sdwa v107, v53, v54 dst_sel:DWORD dst_unused:UNUSED_PAD src0_sel:DWORD src1_sel:WORD_1
	v_fma_f16 v107, v104, v54, -v107
	v_mul_f16_sdwa v104, v104, v54 dst_sel:DWORD dst_unused:UNUSED_PAD src0_sel:DWORD src1_sel:WORD_1
	v_fma_f16 v53, v53, v54, v104
	s_waitcnt vmcnt(7)
	v_mul_f16_sdwa v54, v78, v55 dst_sel:DWORD dst_unused:UNUSED_PAD src0_sel:DWORD src1_sel:WORD_1
	v_fma_f16 v54, v97, v55, -v54
	v_mul_f16_sdwa v97, v97, v55 dst_sel:DWORD dst_unused:UNUSED_PAD src0_sel:DWORD src1_sel:WORD_1
	v_fma_f16 v78, v78, v55, v97
	s_waitcnt lgkmcnt(5)
	v_mul_f16_sdwa v55, v90, v56 dst_sel:DWORD dst_unused:UNUSED_PAD src0_sel:DWORD src1_sel:WORD_1
	v_fma_f16 v97, v103, v56, -v55
	v_mul_f16_sdwa v55, v103, v56 dst_sel:DWORD dst_unused:UNUSED_PAD src0_sel:DWORD src1_sel:WORD_1
	v_fma_f16 v56, v90, v56, v55
	s_waitcnt vmcnt(6)
	v_mul_f16_sdwa v55, v79, v57 dst_sel:DWORD dst_unused:UNUSED_PAD src0_sel:DWORD src1_sel:WORD_1
	v_fma_f16 v90, v98, v57, -v55
	v_mul_f16_sdwa v55, v98, v57 dst_sel:DWORD dst_unused:UNUSED_PAD src0_sel:DWORD src1_sel:WORD_1
	v_fma_f16 v79, v79, v57, v55
	;; [unrolled: 10-line block ×6, first 2 shown]
	ds_read_u16 v83, v27
	ds_read_u16 v102, v28
	;; [unrolled: 1-line block ×3, first 2 shown]
	ds_read_u16 v55, v14 offset:3024
	ds_read_u16 v57, v14 offset:3150
	;; [unrolled: 1-line block ×4, first 2 shown]
	ds_read_u16 v108, v22
	ds_read_u16 v109, v19
	s_waitcnt lgkmcnt(5)
	v_mul_f16_sdwa v60, v55, v67 dst_sel:DWORD dst_unused:UNUSED_PAD src0_sel:DWORD src1_sel:WORD_1
	v_fma_f16 v110, v50, v67, -v60
	v_mul_f16_sdwa v50, v50, v67 dst_sel:DWORD dst_unused:UNUSED_PAD src0_sel:DWORD src1_sel:WORD_1
	v_fma_f16 v50, v55, v67, v50
	s_waitcnt vmcnt(1) lgkmcnt(2)
	v_mul_f16_sdwa v55, v59, v68 dst_sel:DWORD dst_unused:UNUSED_PAD src0_sel:DWORD src1_sel:WORD_1
	v_fma_f16 v67, v48, v68, -v55
	v_mul_f16_sdwa v48, v48, v68 dst_sel:DWORD dst_unused:UNUSED_PAD src0_sel:DWORD src1_sel:WORD_1
	v_mul_f16_sdwa v55, v57, v69 dst_sel:DWORD dst_unused:UNUSED_PAD src0_sel:DWORD src1_sel:WORD_1
	v_fma_f16 v48, v59, v68, v48
	v_fma_f16 v68, v46, v69, -v55
	v_mul_f16_sdwa v46, v46, v69 dst_sel:DWORD dst_unused:UNUSED_PAD src0_sel:DWORD src1_sel:WORD_1
	s_waitcnt vmcnt(0)
	v_mul_f16_sdwa v55, v106, v70 dst_sel:DWORD dst_unused:UNUSED_PAD src0_sel:DWORD src1_sel:WORD_1
	v_fma_f16 v46, v57, v69, v46
	v_fma_f16 v69, v49, v70, -v55
	v_mul_f16_sdwa v49, v49, v70 dst_sel:DWORD dst_unused:UNUSED_PAD src0_sel:DWORD src1_sel:WORD_1
	v_fma_f16 v70, v106, v70, v49
	v_mul_f16_sdwa v49, v58, v71 dst_sel:DWORD dst_unused:UNUSED_PAD src0_sel:DWORD src1_sel:WORD_1
	v_fma_f16 v106, v47, v71, -v49
	v_add_f16_e32 v49, v87, v107
	v_fma_f16 v49, v49, -0.5, v45
	v_sub_f16_e32 v55, v31, v53
	v_mul_f16_sdwa v47, v47, v71 dst_sel:DWORD dst_unused:UNUSED_PAD src0_sel:DWORD src1_sel:WORD_1
	v_fma_f16 v57, v55, s10, v49
	v_fma_f16 v49, v55, s11, v49
	v_add_f16_e32 v55, v86, v31
	v_add_f16_e32 v31, v31, v53
	v_fma_f16 v47, v58, v71, v47
	v_add_f16_e32 v71, v55, v53
	v_fma_f16 v31, v31, -0.5, v86
	v_sub_f16_e32 v53, v87, v107
	v_add_f16_e32 v45, v45, v87
	v_fma_f16 v86, v53, s11, v31
	v_fma_f16 v87, v53, s10, v31
	v_add_f16_e32 v31, v54, v97
	v_fma_f16 v31, v31, -0.5, v39
	v_sub_f16_e32 v53, v78, v56
	v_fma_f16 v55, v53, s10, v31
	v_fma_f16 v53, v53, s11, v31
	v_add_f16_e32 v31, v90, v98
	v_fma_f16 v31, v31, -0.5, v38
	v_sub_f16_e32 v58, v79, v91
	;; [unrolled: 5-line block ×5, first 2 shown]
	v_fma_f16 v65, v64, s10, v31
	v_fma_f16 v64, v64, s11, v31
	v_add_f16_e32 v31, v104, v110
	v_add_f16_e32 v45, v45, v107
	v_fma_f16 v31, v31, -0.5, v37
	v_sub_f16_e32 v107, v66, v50
	v_fma_f16 v111, v107, s10, v31
	v_fma_f16 v107, v107, s11, v31
	v_add_f16_e32 v31, v67, v68
	v_fma_f16 v31, v31, -0.5, v36
	v_sub_f16_e32 v112, v48, v46
	v_fma_f16 v113, v112, s10, v31
	v_fma_f16 v112, v112, s11, v31
	;; [unrolled: 5-line block ×3, first 2 shown]
	v_mov_b32_e32 v31, 1
	v_lshlrev_b32_sdwa v40, v31, v40 dst_sel:DWORD dst_unused:UNUSED_PAD src0_sel:DWORD src1_sel:BYTE_0
	v_add3_u32 v116, 0, v32, v40
	v_lshlrev_b32_sdwa v32, v31, v42 dst_sel:DWORD dst_unused:UNUSED_PAD src0_sel:DWORD src1_sel:BYTE_0
	v_mul_u32_u24_e32 v40, 18, v41
	ds_read_u16 v117, v24
	ds_read_u16 v118, v25
	;; [unrolled: 1-line block ×3, first 2 shown]
	s_waitcnt lgkmcnt(0)
	; wave barrier
	s_waitcnt lgkmcnt(0)
	ds_write_b16 v116, v45
	ds_write_b16 v116, v57 offset:6
	ds_write_b16 v116, v49 offset:12
	v_add3_u32 v45, 0, v40, v32
	v_add_f16_e32 v32, v39, v54
	v_add_f16_e32 v32, v32, v97
	ds_write_b16 v45, v32
	ds_write_b16 v45, v55 offset:6
	ds_write_b16 v45, v53 offset:12
	v_lshlrev_b32_sdwa v32, v31, v44 dst_sel:DWORD dst_unused:UNUSED_PAD src0_sel:DWORD src1_sel:BYTE_0
	v_mul_u32_u24_e32 v39, 18, v43
	v_add3_u32 v120, 0, v39, v32
	v_add_f16_e32 v32, v38, v90
	v_add_f16_e32 v32, v32, v98
	ds_write_b16 v120, v32
	ds_write_b16 v120, v59 offset:6
	ds_write_b16 v120, v58 offset:12
	v_lshlrev_b32_sdwa v32, v31, v52 dst_sel:DWORD dst_unused:UNUSED_PAD src0_sel:DWORD src1_sel:BYTE_0
	v_mul_u32_u24_e32 v38, 18, v51
	v_add3_u32 v51, 0, v38, v32
	v_add_f16_e32 v32, v34, v93
	v_add_f16_e32 v32, v32, v99
	ds_write_b16 v51, v32
	ds_write_b16 v51, v61 offset:6
	ds_write_b16 v51, v60 offset:12
	v_lshlrev_b32_e32 v32, 1, v73
	v_mul_u32_u24_e32 v34, 18, v72
	v_add3_u32 v72, 0, v34, v32
	v_add_f16_e32 v32, v33, v94
	v_add_f16_e32 v32, v32, v100
	ds_write_b16 v72, v32
	ds_write_b16 v72, v63 offset:6
	ds_write_b16 v72, v62 offset:12
	v_lshlrev_b32_e32 v32, 1, v75
	v_mul_u32_u24_e32 v33, 18, v74
	v_add_f16_e32 v6, v6, v96
	v_add3_u32 v73, 0, v33, v32
	v_add_f16_e32 v6, v6, v101
	ds_write_b16 v73, v6
	ds_write_b16 v73, v65 offset:6
	ds_write_b16 v73, v64 offset:12
	v_lshlrev_b32_e32 v6, 1, v77
	v_mul_u32_u24_e32 v32, 18, v76
	v_add3_u32 v74, 0, v32, v6
	v_add_f16_e32 v6, v37, v104
	v_add_f16_e32 v6, v6, v110
	ds_write_b16 v74, v6
	ds_write_b16 v74, v111 offset:6
	ds_write_b16 v74, v107 offset:12
	v_lshlrev_b32_e32 v6, 1, v85
	v_mul_u32_u24_e32 v32, 18, v84
	v_add3_u32 v75, 0, v32, v6
	v_add_f16_e32 v6, v36, v67
	;; [unrolled: 8-line block ×3, first 2 shown]
	v_add_f16_e32 v6, v6, v106
	ds_write_b16 v76, v6
	ds_write_b16 v76, v115 offset:6
	ds_write_b16 v76, v114 offset:12
	s_waitcnt lgkmcnt(0)
	; wave barrier
	s_waitcnt lgkmcnt(0)
	ds_read_u16 v35, v27
	ds_read_u16 v33, v28
	;; [unrolled: 1-line block ×3, first 2 shown]
	ds_read_u16 v59, v14 offset:2520
	ds_read_u16 v57, v14 offset:2646
	;; [unrolled: 1-line block ×4, first 2 shown]
	ds_read_u16 v39, v14
	ds_read_u16 v64, v14 offset:1134
	ds_read_u16 v62, v14 offset:1260
	ds_read_u16 v61, v14 offset:1386
	ds_read_u16 v60, v14 offset:1512
	ds_read_u16 v58, v14 offset:1638
	ds_read_u16 v55, v14 offset:1764
	ds_read_u16 v52, v14 offset:1890
	ds_read_u16 v42, v14 offset:2016
	ds_read_u16 v44, v14 offset:3024
	ds_read_u16 v40, v14 offset:3150
	ds_read_u16 v36, v24
	ds_read_u16 v34, v25
	;; [unrolled: 1-line block ×3, first 2 shown]
	ds_read_u16 v63, v14 offset:2394
	ds_read_u16 v65, v14 offset:2268
	;; [unrolled: 1-line block ×3, first 2 shown]
	ds_read_u16 v37, v22
	ds_read_u16 v38, v19
	ds_read_u16 v41, v14 offset:3276
	s_waitcnt lgkmcnt(0)
	; wave barrier
	s_waitcnt lgkmcnt(0)
	ds_write_b16 v116, v71
	ds_write_b16 v116, v86 offset:6
	ds_write_b16 v116, v87 offset:12
	v_add_f16_e32 v71, v109, v78
	v_add_f16_e32 v71, v71, v56
	;; [unrolled: 1-line block ×3, first 2 shown]
	v_fma_f16 v56, v56, -0.5, v109
	v_sub_f16_e32 v54, v54, v97
	v_fma_f16 v77, v54, s11, v56
	v_fma_f16 v54, v54, s10, v56
	ds_write_b16 v45, v71
	ds_write_b16 v45, v77 offset:6
	ds_write_b16 v45, v54 offset:12
	v_add_f16_e32 v54, v79, v91
	v_add_f16_e32 v45, v108, v79
	v_fma_f16 v54, v54, -0.5, v108
	v_sub_f16_e32 v56, v90, v98
	v_add_f16_e32 v45, v45, v91
	v_fma_f16 v71, v56, s11, v54
	v_fma_f16 v54, v56, s10, v54
	ds_write_b16 v120, v45
	ds_write_b16 v120, v71 offset:6
	ds_write_b16 v120, v54 offset:12
	v_add_f16_e32 v54, v80, v92
	v_add_f16_e32 v45, v83, v80
	v_fma_f16 v54, v54, -0.5, v83
	v_sub_f16_e32 v56, v93, v99
	v_add_f16_e32 v77, v81, v95
	v_add_f16_e32 v80, v82, v103
	v_fma_f16 v71, v56, s11, v54
	v_fma_f16 v54, v56, s10, v54
	v_add_f16_e32 v56, v102, v81
	v_fma_f16 v77, v77, -0.5, v102
	v_sub_f16_e32 v78, v94, v100
	v_fma_f16 v80, v80, -0.5, v105
	v_sub_f16_e32 v81, v96, v101
	v_fma_f16 v79, v78, s11, v77
	v_fma_f16 v77, v78, s10, v77
	v_add_f16_e32 v78, v105, v82
	v_fma_f16 v82, v81, s11, v80
	v_fma_f16 v80, v81, s10, v80
	v_add_f16_e32 v81, v117, v66
	v_add_f16_e32 v81, v81, v50
	;; [unrolled: 1-line block ×3, first 2 shown]
	v_fma_f16 v50, v50, -0.5, v117
	v_sub_f16_e32 v66, v104, v110
	v_fma_f16 v83, v66, s11, v50
	v_fma_f16 v50, v66, s10, v50
	v_add_f16_e32 v66, v118, v48
	v_add_f16_e32 v66, v66, v46
	;; [unrolled: 1-line block ×3, first 2 shown]
	v_fma_f16 v46, v46, -0.5, v118
	v_sub_f16_e32 v48, v67, v68
	v_fma_f16 v67, v48, s11, v46
	v_fma_f16 v46, v48, s10, v46
	v_add_f16_e32 v48, v119, v70
	v_add_f16_e32 v48, v48, v47
	;; [unrolled: 1-line block ×4, first 2 shown]
	v_fma_f16 v47, v47, -0.5, v119
	v_sub_f16_e32 v68, v69, v106
	v_add_f16_e32 v56, v56, v95
	v_add_f16_e32 v78, v78, v103
	v_fma_f16 v69, v68, s11, v47
	v_fma_f16 v47, v68, s10, v47
	ds_write_b16 v51, v45
	ds_write_b16 v51, v71 offset:6
	ds_write_b16 v51, v54 offset:12
	ds_write_b16 v72, v56
	ds_write_b16 v72, v79 offset:6
	ds_write_b16 v72, v77 offset:12
	;; [unrolled: 3-line block ×6, first 2 shown]
	v_mov_b32_e32 v54, 57
	v_mul_lo_u16_sdwa v45, v7, v54 dst_sel:DWORD dst_unused:UNUSED_PAD src0_sel:BYTE_0 src1_sel:DWORD
	v_mul_u32_u24_sdwa v74, v11, s0 dst_sel:DWORD dst_unused:UNUSED_PAD src0_sel:WORD_0 src1_sel:DWORD
	v_lshrrev_b16_e32 v45, 9, v45
	v_lshrrev_b32_e32 v84, 19, v74
	v_mul_lo_u16_e32 v46, 9, v45
	v_mul_lo_u16_e32 v74, 9, v84
	v_sub_u16_e32 v46, v7, v46
	v_sub_u16_e32 v85, v11, v74
	v_lshlrev_b32_sdwa v47, v30, v46 dst_sel:DWORD dst_unused:UNUSED_PAD src0_sel:DWORD src1_sel:BYTE_0
	v_lshlrev_b32_e32 v74, 3, v85
	s_waitcnt lgkmcnt(0)
	; wave barrier
	s_waitcnt lgkmcnt(0)
	global_load_dwordx2 v[66:67], v47, s[8:9] offset:24
	v_mul_u32_u24_sdwa v76, v12, s0 dst_sel:DWORD dst_unused:UNUSED_PAD src0_sel:WORD_0 src1_sel:DWORD
	global_load_dwordx2 v[74:75], v74, s[8:9] offset:24
	v_mul_lo_u16_sdwa v47, v9, v54 dst_sel:DWORD dst_unused:UNUSED_PAD src0_sel:BYTE_0 src1_sel:DWORD
	v_lshrrev_b16_e32 v47, 9, v47
	v_lshrrev_b32_e32 v86, 19, v76
	v_mul_lo_u16_e32 v48, 9, v47
	v_mul_lo_u16_e32 v76, 9, v86
	v_sub_u16_e32 v48, v9, v48
	v_sub_u16_e32 v87, v12, v76
	v_lshlrev_b32_sdwa v50, v30, v48 dst_sel:DWORD dst_unused:UNUSED_PAD src0_sel:DWORD src1_sel:BYTE_0
	v_lshlrev_b32_e32 v76, 3, v87
	global_load_dwordx2 v[68:69], v50, s[8:9] offset:24
	v_mul_u32_u24_sdwa v78, v15, s0 dst_sel:DWORD dst_unused:UNUSED_PAD src0_sel:WORD_0 src1_sel:DWORD
	global_load_dwordx2 v[76:77], v76, s[8:9] offset:24
	v_mul_lo_u16_sdwa v50, v10, v54 dst_sel:DWORD dst_unused:UNUSED_PAD src0_sel:BYTE_0 src1_sel:DWORD
	v_lshrrev_b16_e32 v50, 9, v50
	v_mul_lo_u16_e32 v51, 9, v50
	v_lshrrev_b32_e32 v88, 19, v78
	v_sub_u16_e32 v51, v10, v51
	v_mul_lo_u16_e32 v78, 9, v88
	v_lshlrev_b32_sdwa v56, v30, v51 dst_sel:DWORD dst_unused:UNUSED_PAD src0_sel:DWORD src1_sel:BYTE_0
	v_mul_lo_u16_sdwa v54, v8, v54 dst_sel:DWORD dst_unused:UNUSED_PAD src0_sel:BYTE_0 src1_sel:DWORD
	v_sub_u16_e32 v89, v15, v78
	global_load_dwordx2 v[70:71], v56, s[8:9] offset:24
	v_lshrrev_b16_e32 v54, 9, v54
	v_lshlrev_b32_e32 v78, 3, v89
	global_load_dwordx2 v[78:79], v78, s[8:9] offset:24
	v_mul_lo_u16_e32 v56, 9, v54
	v_sub_u16_e32 v56, v8, v56
	v_lshlrev_b32_sdwa v72, v30, v56 dst_sel:DWORD dst_unused:UNUSED_PAD src0_sel:DWORD src1_sel:BYTE_0
	global_load_dwordx2 v[72:73], v72, s[8:9] offset:24
	v_mul_u32_u24_sdwa v80, v17, s0 dst_sel:DWORD dst_unused:UNUSED_PAD src0_sel:WORD_0 src1_sel:DWORD
	v_lshrrev_b32_e32 v97, 19, v80
	v_mul_lo_u16_e32 v80, 9, v97
	v_sub_u16_e32 v98, v17, v80
	v_lshlrev_b32_e32 v80, 3, v98
	v_mul_u32_u24_sdwa v82, v16, s0 dst_sel:DWORD dst_unused:UNUSED_PAD src0_sel:WORD_0 src1_sel:DWORD
	ds_read_u16 v90, v14 offset:1134
	ds_read_u16 v91, v14 offset:1260
	;; [unrolled: 1-line block ×7, first 2 shown]
	global_load_dwordx2 v[80:81], v80, s[8:9] offset:24
	v_lshrrev_b32_e32 v101, 19, v82
	v_mul_lo_u16_e32 v82, 9, v101
	v_sub_u16_e32 v102, v16, v82
	v_lshlrev_b32_e32 v82, 3, v102
	global_load_dwordx2 v[82:83], v82, s[8:9] offset:24
	ds_read_u16 v99, v14
	v_lshlrev_b32_sdwa v46, v31, v46 dst_sel:DWORD dst_unused:UNUSED_PAD src0_sel:DWORD src1_sel:BYTE_0
	v_mul_u32_u24_e32 v45, 54, v45
	v_add3_u32 v45, 0, v45, v46
	s_movk_i32 s0, 0x2f69
	s_waitcnt vmcnt(8) lgkmcnt(7)
	v_mul_f16_sdwa v100, v90, v66 dst_sel:DWORD dst_unused:UNUSED_PAD src0_sel:DWORD src1_sel:WORD_1
	v_fma_f16 v100, v64, v66, -v100
	v_mul_f16_sdwa v64, v64, v66 dst_sel:DWORD dst_unused:UNUSED_PAD src0_sel:DWORD src1_sel:WORD_1
	v_fma_f16 v64, v90, v66, v64
	ds_read_u16 v66, v14 offset:2268
	ds_read_u16 v90, v14 offset:2394
	;; [unrolled: 1-line block ×7, first 2 shown]
	s_waitcnt lgkmcnt(6)
	v_mul_f16_sdwa v108, v66, v67 dst_sel:DWORD dst_unused:UNUSED_PAD src0_sel:DWORD src1_sel:WORD_1
	v_fma_f16 v108, v65, v67, -v108
	v_mul_f16_sdwa v65, v65, v67 dst_sel:DWORD dst_unused:UNUSED_PAD src0_sel:DWORD src1_sel:WORD_1
	v_fma_f16 v65, v66, v67, v65
	s_waitcnt vmcnt(6)
	v_mul_f16_sdwa v66, v91, v68 dst_sel:DWORD dst_unused:UNUSED_PAD src0_sel:DWORD src1_sel:WORD_1
	v_fma_f16 v66, v62, v68, -v66
	v_mul_f16_sdwa v62, v62, v68 dst_sel:DWORD dst_unused:UNUSED_PAD src0_sel:DWORD src1_sel:WORD_1
	v_fma_f16 v67, v91, v68, v62
	s_waitcnt lgkmcnt(5)
	v_mul_f16_sdwa v62, v90, v69 dst_sel:DWORD dst_unused:UNUSED_PAD src0_sel:DWORD src1_sel:WORD_1
	v_fma_f16 v68, v63, v69, -v62
	v_mul_f16_sdwa v62, v63, v69 dst_sel:DWORD dst_unused:UNUSED_PAD src0_sel:DWORD src1_sel:WORD_1
	v_fma_f16 v69, v90, v69, v62
	s_waitcnt vmcnt(4)
	v_mul_f16_sdwa v62, v92, v70 dst_sel:DWORD dst_unused:UNUSED_PAD src0_sel:DWORD src1_sel:WORD_1
	v_fma_f16 v90, v61, v70, -v62
	v_mul_f16_sdwa v61, v61, v70 dst_sel:DWORD dst_unused:UNUSED_PAD src0_sel:DWORD src1_sel:WORD_1
	v_fma_f16 v70, v92, v70, v61
	;; [unrolled: 10-line block ×3, first 2 shown]
	s_waitcnt lgkmcnt(3)
	v_mul_f16_sdwa v59, v104, v73 dst_sel:DWORD dst_unused:UNUSED_PAD src0_sel:DWORD src1_sel:WORD_1
	v_fma_f16 v93, v57, v73, -v59
	v_mul_f16_sdwa v57, v57, v73 dst_sel:DWORD dst_unused:UNUSED_PAD src0_sel:DWORD src1_sel:WORD_1
	v_fma_f16 v73, v104, v73, v57
	v_mul_f16_sdwa v57, v94, v74 dst_sel:DWORD dst_unused:UNUSED_PAD src0_sel:DWORD src1_sel:WORD_1
	v_fma_f16 v103, v58, v74, -v57
	v_mul_f16_sdwa v57, v58, v74 dst_sel:DWORD dst_unused:UNUSED_PAD src0_sel:DWORD src1_sel:WORD_1
	v_fma_f16 v74, v94, v74, v57
	s_waitcnt lgkmcnt(2)
	v_mul_f16_sdwa v57, v105, v75 dst_sel:DWORD dst_unused:UNUSED_PAD src0_sel:DWORD src1_sel:WORD_1
	v_fma_f16 v94, v53, v75, -v57
	v_mul_f16_sdwa v53, v53, v75 dst_sel:DWORD dst_unused:UNUSED_PAD src0_sel:DWORD src1_sel:WORD_1
	v_fma_f16 v75, v105, v75, v53
	v_mul_f16_sdwa v53, v95, v76 dst_sel:DWORD dst_unused:UNUSED_PAD src0_sel:DWORD src1_sel:WORD_1
	v_fma_f16 v104, v55, v76, -v53
	v_mul_f16_sdwa v53, v55, v76 dst_sel:DWORD dst_unused:UNUSED_PAD src0_sel:DWORD src1_sel:WORD_1
	v_fma_f16 v76, v95, v76, v53
	;; [unrolled: 9-line block ×3, first 2 shown]
	ds_read_u16 v78, v27
	ds_read_u16 v96, v28
	;; [unrolled: 1-line block ×3, first 2 shown]
	ds_read_u16 v49, v14 offset:3024
	ds_read_u16 v53, v14 offset:3150
	;; [unrolled: 1-line block ×4, first 2 shown]
	ds_read_u16 v109, v22
	ds_read_u16 v110, v19
	s_waitcnt lgkmcnt(5)
	v_mul_f16_sdwa v58, v49, v79 dst_sel:DWORD dst_unused:UNUSED_PAD src0_sel:DWORD src1_sel:WORD_1
	v_fma_f16 v111, v44, v79, -v58
	v_mul_f16_sdwa v44, v44, v79 dst_sel:DWORD dst_unused:UNUSED_PAD src0_sel:DWORD src1_sel:WORD_1
	v_fma_f16 v79, v49, v79, v44
	s_waitcnt vmcnt(1) lgkmcnt(2)
	v_mul_f16_sdwa v44, v57, v80 dst_sel:DWORD dst_unused:UNUSED_PAD src0_sel:DWORD src1_sel:WORD_1
	v_fma_f16 v112, v42, v80, -v44
	v_mul_f16_sdwa v42, v42, v80 dst_sel:DWORD dst_unused:UNUSED_PAD src0_sel:DWORD src1_sel:WORD_1
	v_fma_f16 v80, v57, v80, v42
	v_mul_f16_sdwa v42, v53, v81 dst_sel:DWORD dst_unused:UNUSED_PAD src0_sel:DWORD src1_sel:WORD_1
	v_fma_f16 v113, v40, v81, -v42
	v_mul_f16_sdwa v40, v40, v81 dst_sel:DWORD dst_unused:UNUSED_PAD src0_sel:DWORD src1_sel:WORD_1
	v_fma_f16 v81, v53, v81, v40
	s_waitcnt vmcnt(0)
	v_mul_f16_sdwa v40, v107, v82 dst_sel:DWORD dst_unused:UNUSED_PAD src0_sel:DWORD src1_sel:WORD_1
	v_fma_f16 v114, v43, v82, -v40
	v_mul_f16_sdwa v40, v43, v82 dst_sel:DWORD dst_unused:UNUSED_PAD src0_sel:DWORD src1_sel:WORD_1
	v_fma_f16 v82, v107, v82, v40
	v_mul_f16_sdwa v40, v55, v83 dst_sel:DWORD dst_unused:UNUSED_PAD src0_sel:DWORD src1_sel:WORD_1
	v_fma_f16 v107, v41, v83, -v40
	v_mul_f16_sdwa v40, v41, v83 dst_sel:DWORD dst_unused:UNUSED_PAD src0_sel:DWORD src1_sel:WORD_1
	v_fma_f16 v83, v55, v83, v40
	v_add_f16_e32 v40, v100, v108
	v_fma_f16 v40, v40, -0.5, v39
	v_sub_f16_e32 v41, v64, v65
	v_fma_f16 v42, v41, s10, v40
	v_fma_f16 v40, v41, s11, v40
	v_add_f16_e32 v41, v99, v64
	v_add_f16_e32 v115, v41, v65
	v_add_f16_e32 v41, v64, v65
	v_fma_f16 v41, v41, -0.5, v99
	v_sub_f16_e32 v43, v100, v108
	v_add_f16_e32 v39, v39, v100
	v_fma_f16 v99, v43, s11, v41
	v_fma_f16 v100, v43, s10, v41
	v_add_f16_e32 v41, v66, v68
	v_fma_f16 v41, v41, -0.5, v38
	v_sub_f16_e32 v43, v67, v69
	v_fma_f16 v44, v43, s10, v41
	v_fma_f16 v41, v43, s11, v41
	v_add_f16_e32 v43, v90, v91
	v_fma_f16 v43, v43, -0.5, v37
	v_sub_f16_e32 v49, v70, v71
	;; [unrolled: 5-line block ×7, first 2 shown]
	v_fma_f16 v65, v64, s10, v62
	v_fma_f16 v62, v64, s11, v62
	v_add_f16_e32 v64, v114, v107
	v_add_f16_e32 v39, v39, v108
	v_fma_f16 v64, v64, -0.5, v6
	v_sub_f16_e32 v108, v82, v83
	v_fma_f16 v116, v108, s10, v64
	v_fma_f16 v64, v108, s11, v64
	ds_read_u16 v46, v24
	ds_read_u16 v108, v25
	ds_read_u16 v117, v26
	s_waitcnt lgkmcnt(0)
	; wave barrier
	s_waitcnt lgkmcnt(0)
	ds_write_b16 v45, v39
	ds_write_b16 v45, v42 offset:18
	ds_write_b16 v45, v40 offset:36
	v_lshlrev_b32_sdwa v39, v31, v48 dst_sel:DWORD dst_unused:UNUSED_PAD src0_sel:DWORD src1_sel:BYTE_0
	v_mul_u32_u24_e32 v40, 54, v47
	v_add_f16_e32 v38, v38, v66
	v_add3_u32 v47, 0, v40, v39
	v_add_f16_e32 v38, v38, v68
	ds_write_b16 v47, v38
	ds_write_b16 v47, v44 offset:18
	ds_write_b16 v47, v41 offset:36
	v_lshlrev_b32_sdwa v38, v31, v51 dst_sel:DWORD dst_unused:UNUSED_PAD src0_sel:DWORD src1_sel:BYTE_0
	v_mul_u32_u24_e32 v39, 54, v50
	v_add_f16_e32 v37, v37, v90
	v_add3_u32 v48, 0, v39, v38
	v_add_f16_e32 v37, v37, v91
	;; [unrolled: 8-line block ×3, first 2 shown]
	ds_write_b16 v50, v35
	ds_write_b16 v50, v57 offset:18
	ds_write_b16 v50, v49 offset:36
	v_lshlrev_b32_e32 v35, 1, v85
	v_mul_u32_u24_e32 v37, 54, v84
	v_add_f16_e32 v33, v33, v103
	v_add3_u32 v54, 0, v37, v35
	v_add_f16_e32 v33, v33, v94
	ds_write_b16 v54, v33
	ds_write_b16 v54, v59 offset:18
	ds_write_b16 v54, v55 offset:36
	v_lshlrev_b32_e32 v33, 1, v87
	v_mul_u32_u24_e32 v35, 54, v86
	v_add_f16_e32 v32, v32, v104
	v_add3_u32 v56, 0, v35, v33
	v_add_f16_e32 v32, v32, v95
	ds_write_b16 v56, v32
	ds_write_b16 v56, v61 offset:18
	ds_write_b16 v56, v58 offset:36
	v_lshlrev_b32_e32 v32, 1, v89
	v_mul_u32_u24_e32 v33, 54, v88
	v_add3_u32 v84, 0, v33, v32
	v_add_f16_e32 v32, v36, v105
	v_add_f16_e32 v32, v32, v111
	ds_write_b16 v84, v32
	ds_write_b16 v84, v63 offset:18
	ds_write_b16 v84, v60 offset:36
	v_lshlrev_b32_e32 v32, 1, v98
	v_mul_u32_u24_e32 v33, 54, v97
	v_add3_u32 v85, 0, v33, v32
	v_add_f16_e32 v32, v34, v112
	v_add_f16_e32 v32, v32, v113
	ds_write_b16 v85, v32
	ds_write_b16 v85, v65 offset:18
	ds_write_b16 v85, v62 offset:36
	v_lshlrev_b32_e32 v32, 1, v102
	v_mul_u32_u24_e32 v33, 54, v101
	v_add_f16_e32 v6, v6, v114
	v_add3_u32 v86, 0, v33, v32
	v_add_f16_e32 v6, v6, v107
	ds_write_b16 v86, v6
	ds_write_b16 v86, v116 offset:18
	ds_write_b16 v86, v64 offset:36
	s_waitcnt lgkmcnt(0)
	; wave barrier
	s_waitcnt lgkmcnt(0)
	ds_read_u16 v35, v27
	ds_read_u16 v33, v28
	;; [unrolled: 1-line block ×3, first 2 shown]
	ds_read_u16 v59, v14 offset:2520
	ds_read_u16 v57, v14 offset:2646
	;; [unrolled: 1-line block ×4, first 2 shown]
	ds_read_u16 v39, v14
	ds_read_u16 v64, v14 offset:1134
	ds_read_u16 v62, v14 offset:1260
	;; [unrolled: 1-line block ×10, first 2 shown]
	ds_read_u16 v36, v24
	ds_read_u16 v34, v25
	;; [unrolled: 1-line block ×3, first 2 shown]
	ds_read_u16 v63, v14 offset:2394
	ds_read_u16 v65, v14 offset:2268
	;; [unrolled: 1-line block ×3, first 2 shown]
	ds_read_u16 v37, v22
	ds_read_u16 v38, v19
	ds_read_u16 v41, v14 offset:3276
	s_waitcnt lgkmcnt(0)
	; wave barrier
	s_waitcnt lgkmcnt(0)
	ds_write_b16 v45, v115
	ds_write_b16 v45, v99 offset:18
	ds_write_b16 v45, v100 offset:36
	v_add_f16_e32 v45, v110, v67
	v_add_f16_e32 v67, v67, v69
	;; [unrolled: 1-line block ×3, first 2 shown]
	v_fma_f16 v67, v67, -0.5, v110
	v_sub_f16_e32 v66, v66, v68
	v_fma_f16 v68, v66, s11, v67
	v_fma_f16 v66, v66, s10, v67
	ds_write_b16 v47, v45
	ds_write_b16 v47, v68 offset:18
	ds_write_b16 v47, v66 offset:36
	v_add_f16_e32 v47, v70, v71
	v_add_f16_e32 v45, v109, v70
	v_fma_f16 v47, v47, -0.5, v109
	v_sub_f16_e32 v66, v90, v91
	v_add_f16_e32 v45, v45, v71
	v_fma_f16 v67, v66, s11, v47
	v_fma_f16 v47, v66, s10, v47
	ds_write_b16 v48, v45
	ds_write_b16 v48, v67 offset:18
	ds_write_b16 v48, v47 offset:36
	v_add_f16_e32 v47, v72, v73
	v_add_f16_e32 v67, v74, v75
	;; [unrolled: 1-line block ×3, first 2 shown]
	v_fma_f16 v47, v47, -0.5, v78
	v_sub_f16_e32 v48, v92, v93
	v_fma_f16 v67, v67, -0.5, v96
	v_sub_f16_e32 v68, v103, v94
	;; [unrolled: 2-line block ×3, first 2 shown]
	v_add_f16_e32 v45, v78, v72
	v_fma_f16 v66, v48, s11, v47
	v_fma_f16 v47, v48, s10, v47
	v_add_f16_e32 v48, v96, v74
	v_fma_f16 v69, v68, s11, v67
	v_fma_f16 v67, v68, s10, v67
	;; [unrolled: 3-line block ×3, first 2 shown]
	v_add_f16_e32 v71, v46, v52
	v_add_f16_e32 v52, v52, v79
	;; [unrolled: 1-line block ×5, first 2 shown]
	v_fma_f16 v46, v52, -0.5, v46
	v_sub_f16_e32 v52, v105, v111
	v_fma_f16 v74, v74, -0.5, v108
	v_sub_f16_e32 v75, v112, v113
	v_add_f16_e32 v77, v82, v83
	v_add_f16_e32 v45, v45, v73
	v_fma_f16 v73, v52, s11, v46
	v_fma_f16 v46, v52, s10, v46
	v_add_f16_e32 v52, v108, v80
	v_fma_f16 v76, v75, s11, v74
	v_fma_f16 v74, v75, s10, v74
	v_add_f16_e32 v75, v117, v82
	v_fma_f16 v77, v77, -0.5, v117
	v_sub_f16_e32 v78, v114, v107
	v_add_f16_e32 v71, v71, v79
	v_add_f16_e32 v52, v52, v81
	v_add_f16_e32 v75, v75, v83
	v_fma_f16 v79, v78, s11, v77
	v_fma_f16 v77, v78, s10, v77
	ds_write_b16 v50, v45
	ds_write_b16 v50, v66 offset:18
	ds_write_b16 v50, v47 offset:36
	ds_write_b16 v54, v48
	ds_write_b16 v54, v69 offset:18
	ds_write_b16 v54, v67 offset:36
	;; [unrolled: 3-line block ×6, first 2 shown]
	v_mul_u32_u24_sdwa v74, v11, s0 dst_sel:DWORD dst_unused:UNUSED_PAD src0_sel:WORD_0 src1_sel:DWORD
	v_sub_u16_sdwa v75, v11, v74 dst_sel:DWORD dst_unused:UNUSED_PAD src0_sel:DWORD src1_sel:WORD_1
	v_mov_b32_e32 v54, 19
	v_lshrrev_b16_e32 v75, 1, v75
	v_mul_lo_u16_sdwa v45, v7, v54 dst_sel:DWORD dst_unused:UNUSED_PAD src0_sel:BYTE_0 src1_sel:DWORD
	v_add_u16_sdwa v74, v75, v74 dst_sel:DWORD dst_unused:UNUSED_PAD src0_sel:DWORD src1_sel:WORD_1
	v_lshrrev_b16_e32 v45, 9, v45
	v_lshrrev_b16_e32 v84, 4, v74
	v_mul_lo_u16_e32 v46, 27, v45
	v_mul_u32_u24_sdwa v75, v12, s0 dst_sel:DWORD dst_unused:UNUSED_PAD src0_sel:WORD_0 src1_sel:DWORD
	v_mul_lo_u16_e32 v74, 27, v84
	v_mul_u32_u24_sdwa v78, v15, s0 dst_sel:DWORD dst_unused:UNUSED_PAD src0_sel:WORD_0 src1_sel:DWORD
	v_sub_u16_e32 v46, v7, v46
	v_sub_u16_sdwa v76, v12, v75 dst_sel:DWORD dst_unused:UNUSED_PAD src0_sel:DWORD src1_sel:WORD_1
	v_sub_u16_e32 v85, v11, v74
	v_sub_u16_sdwa v77, v15, v78 dst_sel:DWORD dst_unused:UNUSED_PAD src0_sel:DWORD src1_sel:WORD_1
	v_lshlrev_b32_sdwa v47, v30, v46 dst_sel:DWORD dst_unused:UNUSED_PAD src0_sel:DWORD src1_sel:BYTE_0
	v_lshrrev_b16_e32 v76, 1, v76
	v_lshlrev_b32_e32 v74, 3, v85
	v_lshrrev_b16_e32 v79, 1, v77
	s_waitcnt lgkmcnt(0)
	; wave barrier
	s_waitcnt lgkmcnt(0)
	global_load_dwordx2 v[66:67], v47, s[8:9] offset:96
	v_mul_lo_u16_sdwa v50, v10, v54 dst_sel:DWORD dst_unused:UNUSED_PAD src0_sel:BYTE_0 src1_sel:DWORD
	v_add_u16_sdwa v76, v76, v75 dst_sel:DWORD dst_unused:UNUSED_PAD src0_sel:DWORD src1_sel:WORD_1
	global_load_dwordx2 v[74:75], v74, s[8:9] offset:96
	v_mul_lo_u16_sdwa v47, v9, v54 dst_sel:DWORD dst_unused:UNUSED_PAD src0_sel:BYTE_0 src1_sel:DWORD
	v_mul_lo_u16_sdwa v54, v8, v54 dst_sel:DWORD dst_unused:UNUSED_PAD src0_sel:BYTE_0 src1_sel:DWORD
	v_add_u16_sdwa v78, v79, v78 dst_sel:DWORD dst_unused:UNUSED_PAD src0_sel:DWORD src1_sel:WORD_1
	v_lshrrev_b16_e32 v47, 9, v47
	v_lshrrev_b16_e32 v54, 9, v54
	;; [unrolled: 1-line block ×3, first 2 shown]
	v_mul_lo_u16_e32 v48, 27, v47
	v_mul_lo_u16_e32 v56, 27, v54
	;; [unrolled: 1-line block ×3, first 2 shown]
	v_sub_u16_e32 v48, v9, v48
	v_sub_u16_e32 v56, v8, v56
	;; [unrolled: 1-line block ×3, first 2 shown]
	v_lshlrev_b32_sdwa v52, v30, v48 dst_sel:DWORD dst_unused:UNUSED_PAD src0_sel:DWORD src1_sel:BYTE_0
	v_lshrrev_b16_e32 v50, 9, v50
	v_lshlrev_b32_sdwa v72, v30, v56 dst_sel:DWORD dst_unused:UNUSED_PAD src0_sel:DWORD src1_sel:BYTE_0
	v_lshlrev_b32_e32 v78, 3, v89
	global_load_dwordx2 v[68:69], v52, s[8:9] offset:96
	v_lshrrev_b16_e32 v86, 4, v76
	global_load_dwordx2 v[72:73], v72, s[8:9] offset:96
	v_mul_lo_u16_e32 v76, 27, v86
	global_load_dwordx2 v[78:79], v78, s[8:9] offset:96
	v_mul_lo_u16_e32 v52, 27, v50
	v_sub_u16_e32 v52, v10, v52
	v_lshlrev_b32_sdwa v70, v30, v52 dst_sel:DWORD dst_unused:UNUSED_PAD src0_sel:DWORD src1_sel:BYTE_0
	global_load_dwordx2 v[70:71], v70, s[8:9] offset:96
	v_sub_u16_e32 v87, v12, v76
	v_lshlrev_b32_e32 v76, 3, v87
	global_load_dwordx2 v[76:77], v76, s[8:9] offset:96
	v_mul_u32_u24_sdwa v80, v17, s0 dst_sel:DWORD dst_unused:UNUSED_PAD src0_sel:WORD_0 src1_sel:DWORD
	v_sub_u16_sdwa v81, v17, v80 dst_sel:DWORD dst_unused:UNUSED_PAD src0_sel:DWORD src1_sel:WORD_1
	v_lshrrev_b16_e32 v81, 1, v81
	v_add_u16_sdwa v80, v81, v80 dst_sel:DWORD dst_unused:UNUSED_PAD src0_sel:DWORD src1_sel:WORD_1
	v_lshrrev_b16_e32 v99, 4, v80
	v_mul_u32_u24_sdwa v82, v16, s0 dst_sel:DWORD dst_unused:UNUSED_PAD src0_sel:WORD_0 src1_sel:DWORD
	v_mul_lo_u16_e32 v80, 27, v99
	v_sub_u16_sdwa v83, v16, v82 dst_sel:DWORD dst_unused:UNUSED_PAD src0_sel:DWORD src1_sel:WORD_1
	v_sub_u16_e32 v100, v17, v80
	v_lshrrev_b16_e32 v83, 1, v83
	v_lshlrev_b32_e32 v80, 3, v100
	v_add_u16_sdwa v82, v83, v82 dst_sel:DWORD dst_unused:UNUSED_PAD src0_sel:DWORD src1_sel:WORD_1
	ds_read_u16 v90, v14 offset:1134
	ds_read_u16 v91, v14 offset:1260
	;; [unrolled: 1-line block ×7, first 2 shown]
	ds_read_u16 v97, v14
	global_load_dwordx2 v[80:81], v80, s[8:9] offset:96
	v_lshrrev_b16_e32 v101, 4, v82
	v_mul_lo_u16_e32 v82, 27, v101
	v_sub_u16_e32 v102, v16, v82
	v_lshlrev_b32_e32 v82, 3, v102
	global_load_dwordx2 v[82:83], v82, s[8:9] offset:96
	v_lshlrev_b32_sdwa v46, v31, v46 dst_sel:DWORD dst_unused:UNUSED_PAD src0_sel:DWORD src1_sel:BYTE_0
	v_mul_u32_u24_e32 v45, 0xa2, v45
	s_waitcnt vmcnt(8) lgkmcnt(7)
	v_mul_f16_sdwa v98, v90, v66 dst_sel:DWORD dst_unused:UNUSED_PAD src0_sel:DWORD src1_sel:WORD_1
	v_fma_f16 v98, v64, v66, -v98
	v_mul_f16_sdwa v64, v64, v66 dst_sel:DWORD dst_unused:UNUSED_PAD src0_sel:DWORD src1_sel:WORD_1
	v_fma_f16 v64, v90, v66, v64
	ds_read_u16 v66, v14 offset:2268
	ds_read_u16 v90, v14 offset:2394
	;; [unrolled: 1-line block ×7, first 2 shown]
	s_waitcnt lgkmcnt(6)
	v_mul_f16_sdwa v108, v66, v67 dst_sel:DWORD dst_unused:UNUSED_PAD src0_sel:DWORD src1_sel:WORD_1
	v_fma_f16 v108, v65, v67, -v108
	v_mul_f16_sdwa v65, v65, v67 dst_sel:DWORD dst_unused:UNUSED_PAD src0_sel:DWORD src1_sel:WORD_1
	v_fma_f16 v65, v66, v67, v65
	s_waitcnt vmcnt(6)
	v_mul_f16_sdwa v66, v91, v68 dst_sel:DWORD dst_unused:UNUSED_PAD src0_sel:DWORD src1_sel:WORD_1
	s_waitcnt lgkmcnt(5)
	v_mul_f16_sdwa v67, v90, v69 dst_sel:DWORD dst_unused:UNUSED_PAD src0_sel:DWORD src1_sel:WORD_1
	v_fma_f16 v66, v62, v68, -v66
	v_mul_f16_sdwa v62, v62, v68 dst_sel:DWORD dst_unused:UNUSED_PAD src0_sel:DWORD src1_sel:WORD_1
	v_fma_f16 v67, v63, v69, -v67
	v_mul_f16_sdwa v63, v63, v69 dst_sel:DWORD dst_unused:UNUSED_PAD src0_sel:DWORD src1_sel:WORD_1
	v_fma_f16 v62, v91, v68, v62
	v_fma_f16 v63, v90, v69, v63
	s_waitcnt vmcnt(3)
	v_mul_f16_sdwa v68, v92, v70 dst_sel:DWORD dst_unused:UNUSED_PAD src0_sel:DWORD src1_sel:WORD_1
	s_waitcnt lgkmcnt(4)
	v_mul_f16_sdwa v69, v103, v71 dst_sel:DWORD dst_unused:UNUSED_PAD src0_sel:DWORD src1_sel:WORD_1
	v_fma_f16 v68, v61, v70, -v68
	v_mul_f16_sdwa v61, v61, v70 dst_sel:DWORD dst_unused:UNUSED_PAD src0_sel:DWORD src1_sel:WORD_1
	v_fma_f16 v69, v59, v71, -v69
	v_mul_f16_sdwa v59, v59, v71 dst_sel:DWORD dst_unused:UNUSED_PAD src0_sel:DWORD src1_sel:WORD_1
	v_fma_f16 v61, v92, v70, v61
	v_fma_f16 v59, v103, v71, v59
	v_mul_f16_sdwa v70, v93, v72 dst_sel:DWORD dst_unused:UNUSED_PAD src0_sel:DWORD src1_sel:WORD_1
	s_waitcnt lgkmcnt(3)
	v_mul_f16_sdwa v71, v104, v73 dst_sel:DWORD dst_unused:UNUSED_PAD src0_sel:DWORD src1_sel:WORD_1
	v_fma_f16 v70, v60, v72, -v70
	v_mul_f16_sdwa v60, v60, v72 dst_sel:DWORD dst_unused:UNUSED_PAD src0_sel:DWORD src1_sel:WORD_1
	v_fma_f16 v71, v57, v73, -v71
	v_mul_f16_sdwa v57, v57, v73 dst_sel:DWORD dst_unused:UNUSED_PAD src0_sel:DWORD src1_sel:WORD_1
	v_fma_f16 v60, v93, v72, v60
	v_fma_f16 v72, v104, v73, v57
	v_mul_f16_sdwa v57, v94, v74 dst_sel:DWORD dst_unused:UNUSED_PAD src0_sel:DWORD src1_sel:WORD_1
	v_fma_f16 v73, v58, v74, -v57
	v_mul_f16_sdwa v57, v58, v74 dst_sel:DWORD dst_unused:UNUSED_PAD src0_sel:DWORD src1_sel:WORD_1
	v_fma_f16 v74, v94, v74, v57
	s_waitcnt lgkmcnt(2)
	v_mul_f16_sdwa v57, v105, v75 dst_sel:DWORD dst_unused:UNUSED_PAD src0_sel:DWORD src1_sel:WORD_1
	v_fma_f16 v90, v53, v75, -v57
	v_mul_f16_sdwa v53, v53, v75 dst_sel:DWORD dst_unused:UNUSED_PAD src0_sel:DWORD src1_sel:WORD_1
	v_fma_f16 v75, v105, v75, v53
	s_waitcnt vmcnt(2)
	v_mul_f16_sdwa v53, v95, v76 dst_sel:DWORD dst_unused:UNUSED_PAD src0_sel:DWORD src1_sel:WORD_1
	v_fma_f16 v91, v55, v76, -v53
	v_mul_f16_sdwa v53, v55, v76 dst_sel:DWORD dst_unused:UNUSED_PAD src0_sel:DWORD src1_sel:WORD_1
	v_fma_f16 v76, v95, v76, v53
	s_waitcnt lgkmcnt(1)
	v_mul_f16_sdwa v53, v106, v77 dst_sel:DWORD dst_unused:UNUSED_PAD src0_sel:DWORD src1_sel:WORD_1
	v_fma_f16 v92, v49, v77, -v53
	v_mul_f16_sdwa v49, v49, v77 dst_sel:DWORD dst_unused:UNUSED_PAD src0_sel:DWORD src1_sel:WORD_1
	v_fma_f16 v77, v106, v77, v49
	v_mul_f16_sdwa v49, v96, v78 dst_sel:DWORD dst_unused:UNUSED_PAD src0_sel:DWORD src1_sel:WORD_1
	v_fma_f16 v93, v51, v78, -v49
	v_mul_f16_sdwa v49, v51, v78 dst_sel:DWORD dst_unused:UNUSED_PAD src0_sel:DWORD src1_sel:WORD_1
	v_fma_f16 v78, v96, v78, v49
	ds_read_u16 v94, v27
	ds_read_u16 v95, v28
	;; [unrolled: 1-line block ×3, first 2 shown]
	ds_read_u16 v49, v14 offset:3024
	ds_read_u16 v51, v14 offset:3150
	;; [unrolled: 1-line block ×4, first 2 shown]
	ds_read_u16 v103, v22
	ds_read_u16 v104, v19
	s_waitcnt lgkmcnt(5)
	v_mul_f16_sdwa v57, v49, v79 dst_sel:DWORD dst_unused:UNUSED_PAD src0_sel:DWORD src1_sel:WORD_1
	v_fma_f16 v105, v44, v79, -v57
	v_mul_f16_sdwa v44, v44, v79 dst_sel:DWORD dst_unused:UNUSED_PAD src0_sel:DWORD src1_sel:WORD_1
	v_fma_f16 v79, v49, v79, v44
	s_waitcnt vmcnt(1) lgkmcnt(2)
	v_mul_f16_sdwa v44, v55, v80 dst_sel:DWORD dst_unused:UNUSED_PAD src0_sel:DWORD src1_sel:WORD_1
	v_fma_f16 v106, v42, v80, -v44
	v_mul_f16_sdwa v42, v42, v80 dst_sel:DWORD dst_unused:UNUSED_PAD src0_sel:DWORD src1_sel:WORD_1
	v_fma_f16 v80, v55, v80, v42
	v_mul_f16_sdwa v42, v51, v81 dst_sel:DWORD dst_unused:UNUSED_PAD src0_sel:DWORD src1_sel:WORD_1
	v_fma_f16 v109, v40, v81, -v42
	v_mul_f16_sdwa v40, v40, v81 dst_sel:DWORD dst_unused:UNUSED_PAD src0_sel:DWORD src1_sel:WORD_1
	v_fma_f16 v81, v51, v81, v40
	s_waitcnt vmcnt(0)
	v_mul_f16_sdwa v40, v107, v82 dst_sel:DWORD dst_unused:UNUSED_PAD src0_sel:DWORD src1_sel:WORD_1
	v_fma_f16 v110, v43, v82, -v40
	v_mul_f16_sdwa v40, v43, v82 dst_sel:DWORD dst_unused:UNUSED_PAD src0_sel:DWORD src1_sel:WORD_1
	v_fma_f16 v82, v107, v82, v40
	v_mul_f16_sdwa v40, v53, v83 dst_sel:DWORD dst_unused:UNUSED_PAD src0_sel:DWORD src1_sel:WORD_1
	v_fma_f16 v107, v41, v83, -v40
	v_mul_f16_sdwa v40, v41, v83 dst_sel:DWORD dst_unused:UNUSED_PAD src0_sel:DWORD src1_sel:WORD_1
	v_fma_f16 v83, v53, v83, v40
	v_add_f16_e32 v40, v98, v108
	v_fma_f16 v40, v40, -0.5, v39
	v_sub_f16_e32 v41, v64, v65
	v_fma_f16 v42, v41, s10, v40
	v_fma_f16 v40, v41, s11, v40
	v_add_f16_e32 v41, v97, v64
	v_add_f16_e32 v111, v41, v65
	;; [unrolled: 1-line block ×3, first 2 shown]
	v_fma_f16 v41, v41, -0.5, v97
	v_sub_f16_e32 v43, v98, v108
	v_fma_f16 v64, v43, s11, v41
	v_fma_f16 v65, v43, s10, v41
	v_add_f16_e32 v41, v66, v67
	v_fma_f16 v41, v41, -0.5, v38
	v_sub_f16_e32 v43, v62, v63
	v_fma_f16 v44, v43, s10, v41
	v_fma_f16 v41, v43, s11, v41
	v_add_f16_e32 v43, v68, v69
	;; [unrolled: 5-line block ×5, first 2 shown]
	v_fma_f16 v57, v57, -0.5, v32
	v_sub_f16_e32 v97, v76, v77
	v_add_f16_e32 v39, v39, v98
	v_fma_f16 v98, v97, s10, v57
	v_fma_f16 v57, v97, s11, v57
	v_add_f16_e32 v97, v93, v105
	v_add_f16_e32 v39, v39, v108
	v_fma_f16 v97, v97, -0.5, v36
	v_sub_f16_e32 v108, v78, v79
	v_fma_f16 v112, v108, s10, v97
	v_fma_f16 v97, v108, s11, v97
	v_add_f16_e32 v108, v106, v109
	v_fma_f16 v108, v108, -0.5, v34
	v_sub_f16_e32 v113, v80, v81
	v_fma_f16 v114, v113, s10, v108
	v_fma_f16 v108, v113, s11, v108
	;; [unrolled: 5-line block ×3, first 2 shown]
	v_add3_u32 v115, 0, v45, v46
	ds_read_u16 v117, v24
	ds_read_u16 v118, v25
	;; [unrolled: 1-line block ×3, first 2 shown]
	s_waitcnt lgkmcnt(0)
	; wave barrier
	s_waitcnt lgkmcnt(0)
	ds_write_b16 v115, v39
	ds_write_b16 v115, v42 offset:54
	ds_write_b16 v115, v40 offset:108
	v_lshlrev_b32_sdwa v39, v31, v48 dst_sel:DWORD dst_unused:UNUSED_PAD src0_sel:DWORD src1_sel:BYTE_0
	v_mul_u32_u24_e32 v40, 0xa2, v47
	v_add_f16_e32 v38, v38, v66
	v_add3_u32 v120, 0, v40, v39
	v_add_f16_e32 v38, v38, v67
	ds_write_b16 v120, v38
	ds_write_b16 v120, v44 offset:54
	ds_write_b16 v120, v41 offset:108
	v_lshlrev_b32_sdwa v38, v31, v52 dst_sel:DWORD dst_unused:UNUSED_PAD src0_sel:DWORD src1_sel:BYTE_0
	v_mul_u32_u24_e32 v39, 0xa2, v50
	v_add_f16_e32 v37, v37, v68
	v_add3_u32 v121, 0, v39, v38
	v_add_f16_e32 v37, v37, v69
	;; [unrolled: 8-line block ×3, first 2 shown]
	ds_write_b16 v122, v35
	ds_write_b16 v122, v55 offset:54
	ds_write_b16 v122, v49 offset:108
	v_lshlrev_b32_e32 v35, 1, v85
	v_mul_u32_u24_e32 v37, 0xa2, v84
	v_add_f16_e32 v33, v33, v73
	v_add3_u32 v84, 0, v37, v35
	v_add_f16_e32 v33, v33, v90
	ds_write_b16 v84, v33
	ds_write_b16 v84, v58 offset:54
	ds_write_b16 v84, v53 offset:108
	v_lshlrev_b32_e32 v33, 1, v87
	v_mul_u32_u24_e32 v35, 0xa2, v86
	v_add_f16_e32 v32, v32, v91
	v_add3_u32 v85, 0, v35, v33
	v_add_f16_e32 v32, v32, v92
	ds_write_b16 v85, v32
	ds_write_b16 v85, v98 offset:54
	ds_write_b16 v85, v57 offset:108
	v_lshlrev_b32_e32 v32, 1, v89
	v_mul_u32_u24_e32 v33, 0xa2, v88
	v_add3_u32 v86, 0, v33, v32
	v_add_f16_e32 v32, v36, v93
	v_add_f16_e32 v32, v32, v105
	ds_write_b16 v86, v32
	ds_write_b16 v86, v112 offset:54
	ds_write_b16 v86, v97 offset:108
	v_lshlrev_b32_e32 v32, 1, v100
	v_mul_u32_u24_e32 v33, 0xa2, v99
	v_add3_u32 v87, 0, v33, v32
	v_add_f16_e32 v32, v34, v106
	v_add_f16_e32 v32, v32, v109
	ds_write_b16 v87, v32
	ds_write_b16 v87, v114 offset:54
	ds_write_b16 v87, v108 offset:108
	v_lshlrev_b32_e32 v32, 1, v102
	v_mul_u32_u24_e32 v33, 0xa2, v101
	v_add_f16_e32 v6, v6, v110
	v_add3_u32 v88, 0, v33, v32
	v_add_f16_e32 v6, v6, v107
	ds_write_b16 v88, v6
	ds_write_b16 v88, v116 offset:54
	ds_write_b16 v88, v113 offset:108
	v_add_f16_e32 v6, v104, v62
	v_add_f16_e32 v62, v62, v63
	;; [unrolled: 1-line block ×3, first 2 shown]
	v_fma_f16 v62, v62, -0.5, v104
	v_sub_f16_e32 v63, v66, v67
	s_waitcnt lgkmcnt(0)
	; wave barrier
	s_waitcnt lgkmcnt(0)
	ds_read_u16 v35, v27
	ds_read_u16 v33, v28
	;; [unrolled: 1-line block ×3, first 2 shown]
	ds_read_u16 v52, v14 offset:2520
	ds_read_u16 v50, v14 offset:2646
	;; [unrolled: 1-line block ×4, first 2 shown]
	ds_read_u16 v38, v14
	ds_read_u16 v56, v14 offset:1134
	ds_read_u16 v55, v14 offset:1260
	;; [unrolled: 1-line block ×10, first 2 shown]
	ds_read_u16 v37, v24
	ds_read_u16 v36, v25
	;; [unrolled: 1-line block ×3, first 2 shown]
	ds_read_u16 v57, v14 offset:2394
	ds_read_u16 v58, v14 offset:2268
	;; [unrolled: 1-line block ×3, first 2 shown]
	ds_read_u16 v39, v22
	ds_read_u16 v40, v19
	ds_read_u16 v42, v14 offset:3276
	s_waitcnt lgkmcnt(0)
	; wave barrier
	s_waitcnt lgkmcnt(0)
	ds_write_b16 v115, v111
	ds_write_b16 v115, v64 offset:54
	ds_write_b16 v115, v65 offset:108
	v_fma_f16 v64, v63, s11, v62
	v_fma_f16 v62, v63, s10, v62
	ds_write_b16 v120, v6
	ds_write_b16 v120, v64 offset:54
	ds_write_b16 v120, v62 offset:108
	v_add_f16_e32 v6, v103, v61
	v_add_f16_e32 v6, v6, v59
	;; [unrolled: 1-line block ×3, first 2 shown]
	v_fma_f16 v59, v59, -0.5, v103
	v_sub_f16_e32 v61, v68, v69
	v_fma_f16 v62, v61, s11, v59
	v_fma_f16 v59, v61, s10, v59
	ds_write_b16 v121, v6
	ds_write_b16 v121, v62 offset:54
	ds_write_b16 v121, v59 offset:108
	v_add_f16_e32 v59, v60, v72
	v_add_f16_e32 v6, v94, v60
	v_fma_f16 v59, v59, -0.5, v94
	v_sub_f16_e32 v60, v70, v71
	v_add_f16_e32 v62, v74, v75
	v_add_f16_e32 v65, v76, v77
	;; [unrolled: 1-line block ×5, first 2 shown]
	v_fma_f16 v61, v60, s11, v59
	v_fma_f16 v59, v60, s10, v59
	v_add_f16_e32 v60, v95, v74
	v_fma_f16 v62, v62, -0.5, v95
	v_sub_f16_e32 v63, v73, v90
	v_fma_f16 v65, v65, -0.5, v96
	v_sub_f16_e32 v66, v91, v92
	;; [unrolled: 2-line block ×4, first 2 shown]
	v_add_f16_e32 v74, v82, v83
	v_add_f16_e32 v60, v60, v75
	v_fma_f16 v64, v63, s11, v62
	v_fma_f16 v62, v63, s10, v62
	v_add_f16_e32 v63, v96, v76
	v_fma_f16 v67, v66, s11, v65
	v_fma_f16 v65, v66, s10, v65
	;; [unrolled: 3-line block ×4, first 2 shown]
	v_add_f16_e32 v72, v119, v82
	v_fma_f16 v74, v74, -0.5, v119
	v_sub_f16_e32 v75, v110, v107
	v_add_f16_e32 v63, v63, v77
	v_add_f16_e32 v66, v66, v79
	;; [unrolled: 1-line block ×4, first 2 shown]
	v_fma_f16 v76, v75, s11, v74
	v_fma_f16 v74, v75, s10, v74
	ds_write_b16 v122, v6
	ds_write_b16 v122, v61 offset:54
	ds_write_b16 v122, v59 offset:108
	ds_write_b16 v84, v60
	ds_write_b16 v84, v64 offset:54
	ds_write_b16 v84, v62 offset:108
	;; [unrolled: 3-line block ×6, first 2 shown]
	v_mov_b32_e32 v6, 0
	v_lshlrev_b64 v[59:60], 2, v[5:6]
	v_mov_b32_e32 v61, s9
	v_add_co_u32_e64 v59, s[0:1], s8, v59
	v_addc_co_u32_e64 v60, s[0:1], v61, v60, s[0:1]
	v_subrev_u32_e32 v5, 18, v7
	v_cmp_gt_u32_e64 s[0:1], 18, v7
	v_cndmask_b32_e64 v5, v5, v9, s[0:1]
	v_lshlrev_b32_e32 v5, 1, v5
	s_waitcnt lgkmcnt(0)
	; wave barrier
	s_waitcnt lgkmcnt(0)
	global_load_dwordx2 v[65:66], v[59:60], off offset:312
	v_lshlrev_b64 v[59:60], 2, v[5:6]
	v_add_co_u32_e64 v59, s[0:1], s8, v59
	v_addc_co_u32_e64 v60, s[0:1], v61, v60, s[0:1]
	s_movk_i32 s0, 0xcb
	v_mul_lo_u16_sdwa v6, v10, s0 dst_sel:DWORD dst_unused:UNUSED_PAD src0_sel:BYTE_0 src1_sel:DWORD
	v_lshrrev_b16_e32 v6, 14, v6
	global_load_dwordx2 v[67:68], v[59:60], off offset:312
	v_mul_lo_u16_e32 v59, 0x51, v6
	v_sub_u16_e32 v60, v10, v59
	v_lshlrev_b32_sdwa v59, v30, v60 dst_sel:DWORD dst_unused:UNUSED_PAD src0_sel:DWORD src1_sel:BYTE_0
	global_load_dwordx2 v[70:71], v59, s[8:9] offset:312
	v_mul_lo_u16_sdwa v59, v8, s0 dst_sel:DWORD dst_unused:UNUSED_PAD src0_sel:BYTE_0 src1_sel:DWORD
	v_lshrrev_b16_e32 v59, 14, v59
	v_mul_lo_u16_e32 v61, 0x51, v59
	v_sub_u16_e32 v61, v8, v61
	v_lshlrev_b32_sdwa v30, v30, v61 dst_sel:DWORD dst_unused:UNUSED_PAD src0_sel:DWORD src1_sel:BYTE_0
	s_movk_i32 s0, 0x6523
	global_load_dwordx2 v[73:74], v30, s[8:9] offset:312
	v_mul_u32_u24_sdwa v30, v11, s0 dst_sel:DWORD dst_unused:UNUSED_PAD src0_sel:WORD_0 src1_sel:DWORD
	v_mul_u32_u24_sdwa v62, v15, s0 dst_sel:DWORD dst_unused:UNUSED_PAD src0_sel:WORD_0 src1_sel:DWORD
	v_lshrrev_b32_e32 v30, 21, v30
	v_lshrrev_b32_e32 v95, 21, v62
	v_mul_lo_u16_e32 v30, 0x51, v30
	v_mul_lo_u16_e32 v62, 0x51, v95
	v_sub_u16_e32 v30, v11, v30
	v_sub_u16_e32 v96, v15, v62
	v_lshlrev_b32_e32 v11, 3, v30
	v_lshlrev_b32_e32 v15, 3, v96
	global_load_dwordx2 v[77:78], v11, s[8:9] offset:312
	global_load_dwordx2 v[81:82], v15, s[8:9] offset:312
	v_mul_u32_u24_sdwa v11, v12, s0 dst_sel:DWORD dst_unused:UNUSED_PAD src0_sel:WORD_0 src1_sel:DWORD
	v_lshrrev_b32_e32 v93, 21, v11
	v_mul_lo_u16_e32 v11, 0x51, v93
	v_sub_u16_e32 v94, v12, v11
	v_lshlrev_b32_e32 v11, 3, v94
	global_load_dwordx2 v[11:12], v11, s[8:9] offset:312
	v_mul_u32_u24_sdwa v15, v17, s0 dst_sel:DWORD dst_unused:UNUSED_PAD src0_sel:WORD_0 src1_sel:DWORD
	v_lshrrev_b32_e32 v97, 21, v15
	v_mul_lo_u16_e32 v15, 0x51, v97
	v_sub_u16_e32 v17, v17, v15
	v_lshlrev_b32_e32 v15, 3, v17
	ds_read_u16 v75, v14 offset:2520
	ds_read_u16 v76, v14 offset:2646
	;; [unrolled: 1-line block ×4, first 2 shown]
	global_load_dwordx2 v[83:84], v15, s[8:9] offset:312
	v_mul_u32_u24_sdwa v15, v16, s0 dst_sel:DWORD dst_unused:UNUSED_PAD src0_sel:WORD_0 src1_sel:DWORD
	v_lshrrev_b32_e32 v15, 21, v15
	v_mul_lo_u16_e32 v15, 0x51, v15
	v_sub_u16_e32 v98, v16, v15
	v_lshlrev_b32_e32 v15, 3, v98
	global_load_dwordx2 v[15:16], v15, s[8:9] offset:312
	ds_read_u16 v64, v14 offset:1134
	ds_read_u16 v72, v14 offset:1260
	;; [unrolled: 1-line block ×7, first 2 shown]
	ds_read_u16 v62, v14
	ds_read_u16 v90, v14 offset:2394
	ds_read_u16 v69, v14 offset:2268
	;; [unrolled: 1-line block ×3, first 2 shown]
	v_cmp_lt_u32_e64 s[0:1], 17, v7
	v_mul_u32_u24_e32 v6, 0x1e6, v6
	s_waitcnt vmcnt(8) lgkmcnt(10)
	v_mul_f16_sdwa v63, v64, v65 dst_sel:DWORD dst_unused:UNUSED_PAD src0_sel:DWORD src1_sel:WORD_1
	v_fma_f16 v63, v56, v65, -v63
	v_mul_f16_sdwa v56, v56, v65 dst_sel:DWORD dst_unused:UNUSED_PAD src0_sel:DWORD src1_sel:WORD_1
	v_fma_f16 v64, v64, v65, v56
	s_waitcnt lgkmcnt(1)
	v_mul_f16_sdwa v56, v69, v66 dst_sel:DWORD dst_unused:UNUSED_PAD src0_sel:DWORD src1_sel:WORD_1
	v_fma_f16 v65, v58, v66, -v56
	v_mul_f16_sdwa v56, v58, v66 dst_sel:DWORD dst_unused:UNUSED_PAD src0_sel:DWORD src1_sel:WORD_1
	v_fma_f16 v69, v69, v66, v56
	s_waitcnt vmcnt(7)
	v_mul_f16_sdwa v56, v72, v67 dst_sel:DWORD dst_unused:UNUSED_PAD src0_sel:DWORD src1_sel:WORD_1
	v_fma_f16 v56, v55, v67, -v56
	v_mul_f16_sdwa v55, v55, v67 dst_sel:DWORD dst_unused:UNUSED_PAD src0_sel:DWORD src1_sel:WORD_1
	v_fma_f16 v58, v72, v67, v55
	v_mul_f16_sdwa v55, v90, v68 dst_sel:DWORD dst_unused:UNUSED_PAD src0_sel:DWORD src1_sel:WORD_1
	v_fma_f16 v66, v57, v68, -v55
	v_mul_f16_sdwa v55, v57, v68 dst_sel:DWORD dst_unused:UNUSED_PAD src0_sel:DWORD src1_sel:WORD_1
	s_waitcnt vmcnt(6)
	v_mul_f16_sdwa v57, v75, v71 dst_sel:DWORD dst_unused:UNUSED_PAD src0_sel:DWORD src1_sel:WORD_1
	v_fma_f16 v57, v52, v71, -v57
	v_mul_f16_sdwa v52, v52, v71 dst_sel:DWORD dst_unused:UNUSED_PAD src0_sel:DWORD src1_sel:WORD_1
	v_fma_f16 v75, v75, v71, v52
	s_waitcnt vmcnt(5)
	v_mul_f16_sdwa v52, v86, v73 dst_sel:DWORD dst_unused:UNUSED_PAD src0_sel:DWORD src1_sel:WORD_1
	v_fma_f16 v52, v53, v73, -v52
	v_mul_f16_sdwa v53, v53, v73 dst_sel:DWORD dst_unused:UNUSED_PAD src0_sel:DWORD src1_sel:WORD_1
	v_fma_f16 v67, v86, v73, v53
	v_mul_f16_sdwa v53, v76, v74 dst_sel:DWORD dst_unused:UNUSED_PAD src0_sel:DWORD src1_sel:WORD_1
	v_fma_f16 v72, v90, v68, v55
	v_fma_f16 v68, v50, v74, -v53
	v_mul_f16_sdwa v50, v50, v74 dst_sel:DWORD dst_unused:UNUSED_PAD src0_sel:DWORD src1_sel:WORD_1
	v_mul_f16_sdwa v55, v85, v70 dst_sel:DWORD dst_unused:UNUSED_PAD src0_sel:DWORD src1_sel:WORD_1
	v_fma_f16 v76, v76, v74, v50
	v_fma_f16 v55, v54, v70, -v55
	s_waitcnt vmcnt(4)
	v_mul_f16_sdwa v50, v87, v77 dst_sel:DWORD dst_unused:UNUSED_PAD src0_sel:DWORD src1_sel:WORD_1
	v_mul_f16_sdwa v54, v54, v70 dst_sel:DWORD dst_unused:UNUSED_PAD src0_sel:DWORD src1_sel:WORD_1
	v_fma_f16 v50, v51, v77, -v50
	v_mul_f16_sdwa v51, v51, v77 dst_sel:DWORD dst_unused:UNUSED_PAD src0_sel:DWORD src1_sel:WORD_1
	v_fma_f16 v54, v85, v70, v54
	v_fma_f16 v70, v87, v77, v51
	v_mul_f16_sdwa v51, v79, v78 dst_sel:DWORD dst_unused:UNUSED_PAD src0_sel:DWORD src1_sel:WORD_1
	v_fma_f16 v71, v48, v78, -v51
	v_mul_f16_sdwa v48, v48, v78 dst_sel:DWORD dst_unused:UNUSED_PAD src0_sel:DWORD src1_sel:WORD_1
	v_fma_f16 v77, v79, v78, v48
	s_waitcnt vmcnt(2)
	v_mul_f16_sdwa v48, v88, v11 dst_sel:DWORD dst_unused:UNUSED_PAD src0_sel:DWORD src1_sel:WORD_1
	v_fma_f16 v51, v49, v11, -v48
	v_mul_f16_sdwa v48, v49, v11 dst_sel:DWORD dst_unused:UNUSED_PAD src0_sel:DWORD src1_sel:WORD_1
	v_fma_f16 v73, v88, v11, v48
	v_mul_f16_sdwa v11, v80, v12 dst_sel:DWORD dst_unused:UNUSED_PAD src0_sel:DWORD src1_sel:WORD_1
	v_fma_f16 v74, v46, v12, -v11
	v_mul_f16_sdwa v11, v46, v12 dst_sel:DWORD dst_unused:UNUSED_PAD src0_sel:DWORD src1_sel:WORD_1
	v_fma_f16 v78, v80, v12, v11
	v_mul_f16_sdwa v11, v89, v81 dst_sel:DWORD dst_unused:UNUSED_PAD src0_sel:DWORD src1_sel:WORD_1
	v_fma_f16 v53, v47, v81, -v11
	v_mul_f16_sdwa v11, v47, v81 dst_sel:DWORD dst_unused:UNUSED_PAD src0_sel:DWORD src1_sel:WORD_1
	v_fma_f16 v47, v89, v81, v11
	ds_read_u16 v87, v28
	ds_read_u16 v80, v29
	ds_read_u16 v11, v14 offset:3024
	ds_read_u16 v12, v14 offset:3150
	ds_read_u16 v28, v14 offset:3276
	ds_read_u16 v29, v14 offset:2016
	ds_read_u16 v89, v27
	ds_read_u16 v90, v22
	;; [unrolled: 1-line block ×3, first 2 shown]
	s_waitcnt lgkmcnt(6)
	v_mul_f16_sdwa v27, v11, v82 dst_sel:DWORD dst_unused:UNUSED_PAD src0_sel:DWORD src1_sel:WORD_1
	v_fma_f16 v81, v45, v82, -v27
	v_mul_f16_sdwa v27, v45, v82 dst_sel:DWORD dst_unused:UNUSED_PAD src0_sel:DWORD src1_sel:WORD_1
	v_fma_f16 v86, v11, v82, v27
	s_waitcnt vmcnt(1) lgkmcnt(3)
	v_mul_f16_sdwa v11, v29, v83 dst_sel:DWORD dst_unused:UNUSED_PAD src0_sel:DWORD src1_sel:WORD_1
	v_fma_f16 v79, v43, v83, -v11
	v_mul_f16_sdwa v11, v43, v83 dst_sel:DWORD dst_unused:UNUSED_PAD src0_sel:DWORD src1_sel:WORD_1
	v_fma_f16 v82, v29, v83, v11
	v_mul_f16_sdwa v11, v12, v84 dst_sel:DWORD dst_unused:UNUSED_PAD src0_sel:DWORD src1_sel:WORD_1
	v_fma_f16 v83, v41, v84, -v11
	v_mul_f16_sdwa v11, v41, v84 dst_sel:DWORD dst_unused:UNUSED_PAD src0_sel:DWORD src1_sel:WORD_1
	v_fma_f16 v88, v12, v84, v11
	s_waitcnt vmcnt(0)
	v_mul_f16_sdwa v11, v92, v15 dst_sel:DWORD dst_unused:UNUSED_PAD src0_sel:DWORD src1_sel:WORD_1
	v_fma_f16 v41, v44, v15, -v11
	v_mul_f16_sdwa v11, v44, v15 dst_sel:DWORD dst_unused:UNUSED_PAD src0_sel:DWORD src1_sel:WORD_1
	v_fma_f16 v84, v92, v15, v11
	v_mul_f16_sdwa v11, v28, v16 dst_sel:DWORD dst_unused:UNUSED_PAD src0_sel:DWORD src1_sel:WORD_1
	v_fma_f16 v85, v42, v16, -v11
	v_mul_f16_sdwa v11, v42, v16 dst_sel:DWORD dst_unused:UNUSED_PAD src0_sel:DWORD src1_sel:WORD_1
	v_fma_f16 v42, v28, v16, v11
	v_mov_b32_e32 v11, 0x1e6
	v_cndmask_b32_e64 v11, 0, v11, s[0:1]
	v_add3_u32 v5, 0, v11, v5
	v_add_f16_e32 v11, v63, v65
	v_fma_f16 v11, v11, -0.5, v38
	v_sub_f16_e32 v12, v64, v69
	v_lshlrev_b32_sdwa v27, v31, v60 dst_sel:DWORD dst_unused:UNUSED_PAD src0_sel:DWORD src1_sel:BYTE_0
	v_lshlrev_b32_sdwa v28, v31, v61 dst_sel:DWORD dst_unused:UNUSED_PAD src0_sel:DWORD src1_sel:BYTE_0
	v_fma_f16 v29, v12, s10, v11
	v_fma_f16 v31, v12, s11, v11
	v_add_f16_e32 v11, v56, v66
	v_fma_f16 v11, v11, -0.5, v40
	v_sub_f16_e32 v12, v58, v72
	v_fma_f16 v43, v12, s10, v11
	v_fma_f16 v44, v12, s11, v11
	v_add_f16_e32 v11, v55, v57
	v_fma_f16 v11, v11, -0.5, v39
	v_sub_f16_e32 v12, v54, v75
	;; [unrolled: 5-line block ×7, first 2 shown]
	v_fma_f16 v11, v15, s10, v12
	v_fma_f16 v12, v15, s11, v12
	v_add_f16_e32 v15, v41, v85
	ds_read_u16 v92, v24
	ds_read_u16 v25, v25
	;; [unrolled: 1-line block ×3, first 2 shown]
	v_add_f16_e32 v26, v38, v63
	v_fma_f16 v16, v15, -0.5, v34
	v_sub_f16_e32 v60, v84, v42
	v_add_f16_e32 v26, v26, v65
	v_fma_f16 v15, v60, s10, v16
	v_fma_f16 v16, v60, s11, v16
	s_waitcnt lgkmcnt(0)
	; wave barrier
	s_waitcnt lgkmcnt(0)
	ds_write_b16 v14, v26
	ds_write_b16 v14, v29 offset:162
	ds_write_b16 v14, v31 offset:324
	v_add_f16_e32 v26, v40, v56
	v_add3_u32 v60, 0, v6, v27
	v_add_f16_e32 v6, v39, v55
	v_add_f16_e32 v26, v26, v66
	;; [unrolled: 1-line block ×3, first 2 shown]
	ds_write_b16 v5, v26
	ds_write_b16 v5, v43 offset:162
	ds_write_b16 v5, v44 offset:324
	ds_write_b16 v60, v6
	ds_write_b16 v60, v45 offset:162
	ds_write_b16 v60, v46 offset:324
	v_mul_u32_u24_e32 v6, 0x1e6, v59
	v_add3_u32 v59, 0, v6, v28
	v_add_f16_e32 v6, v35, v52
	v_add_f16_e32 v6, v6, v68
	ds_write_b16 v59, v6
	ds_write_b16 v59, v48 offset:162
	ds_write_b16 v59, v49 offset:324
	v_add_f16_e32 v6, v33, v50
	v_add_f16_e32 v6, v6, v71
	v_lshl_add_u32 v61, v30, 1, 0
	ds_write_b16 v61, v6 offset:1458
	ds_write_b16 v61, v99 offset:1620
	;; [unrolled: 1-line block ×3, first 2 shown]
	v_lshlrev_b32_e32 v6, 1, v94
	v_mul_u32_u24_e32 v26, 0x1e6, v93
	v_lshlrev_b32_e32 v27, 1, v17
	v_add_f16_e32 v17, v32, v51
	v_add3_u32 v93, 0, v26, v6
	v_add_f16_e32 v28, v17, v74
	v_lshlrev_b32_e32 v26, 1, v96
	v_add_f16_e32 v17, v37, v53
	ds_write_b16 v93, v28
	ds_write_b16 v93, v101 offset:162
	ds_write_b16 v93, v102 offset:324
	v_mul_u32_u24_e32 v28, 0x1e6, v95
	v_sub_u32_e32 v6, 0, v23
	v_add_f16_e32 v29, v17, v81
	v_add_f16_e32 v17, v36, v79
	;; [unrolled: 1-line block ×3, first 2 shown]
	v_add3_u32 v94, 0, v28, v26
	v_mul_u32_u24_e32 v26, 0x1e6, v97
	v_add_f16_e32 v17, v17, v83
	v_add_f16_e32 v23, v23, v85
	v_add3_u32 v95, 0, v26, v27
	v_lshl_add_u32 v96, v98, 1, 0
	ds_write_b16 v94, v29
	ds_write_b16 v94, v103 offset:162
	ds_write_b16 v94, v104 offset:324
	ds_write_b16 v95, v17
	ds_write_b16 v95, v11 offset:162
	ds_write_b16 v95, v12 offset:324
	;; [unrolled: 1-line block ×5, first 2 shown]
	s_waitcnt lgkmcnt(0)
	; wave barrier
	s_waitcnt lgkmcnt(0)
	ds_read_u16 v26, v14
	ds_read_u16 v27, v14 offset:486
	ds_read_u16 v48, v14 offset:612
	;; [unrolled: 1-line block ×5, first 2 shown]
	ds_read_u16 v33, v22
	ds_read_u16 v30, v14 offset:1458
	ds_read_u16 v34, v14 offset:1224
	;; [unrolled: 1-line block ×12, first 2 shown]
	ds_read_u16 v43, v19
	ds_read_u16 v39, v14 offset:3168
	v_sub_u32_e32 v19, 0, v21
	v_sub_u32_e32 v98, 0, v20
	v_cmp_gt_u32_e64 s[0:1], 54, v7
	v_add_u32_e32 v97, v18, v19
                                        ; implicit-def: $vgpr18
	s_and_saveexec_b64 s[6:7], s[0:1]
	s_cbranch_execz .LBB0_15
; %bb.14:
	ds_read_u16 v11, v14 offset:864
	ds_read_u16 v12, v14 offset:1350
	;; [unrolled: 1-line block ×5, first 2 shown]
	ds_read_u16 v17, v97
	ds_read_u16 v18, v14 offset:3294
.LBB0_15:
	s_or_b64 exec, exec, s[6:7]
	v_add_f16_e32 v19, v62, v64
	v_add_f16_e32 v99, v19, v69
	v_add_f16_e32 v19, v64, v69
	v_fma_f16 v19, v19, -0.5, v62
	v_sub_f16_e32 v20, v63, v65
	v_fma_f16 v62, v20, s11, v19
	v_fma_f16 v63, v20, s10, v19
	v_add_f16_e32 v19, v91, v58
	v_add_f16_e32 v64, v19, v72
	v_add_f16_e32 v19, v58, v72
	v_fma_f16 v19, v19, -0.5, v91
	v_sub_f16_e32 v20, v56, v66
	v_fma_f16 v56, v20, s11, v19
	v_fma_f16 v58, v20, s10, v19
	;; [unrolled: 7-line block ×7, first 2 shown]
	v_add_f16_e32 v20, v82, v88
	v_add_f16_e32 v19, v25, v82
	v_fma_f16 v21, v20, -0.5, v25
	v_sub_f16_e32 v22, v79, v83
	v_add_f16_e32 v25, v84, v42
	v_fma_f16 v20, v22, s11, v21
	v_fma_f16 v21, v22, s10, v21
	v_add_f16_e32 v22, v24, v84
	v_fma_f16 v25, v25, -0.5, v24
	v_sub_f16_e32 v41, v41, v85
	v_add_u32_e32 v0, v0, v98
	v_add_f16_e32 v19, v19, v88
	v_add_f16_e32 v22, v22, v42
	v_fma_f16 v24, v41, s11, v25
	v_fma_f16 v25, v41, s10, v25
	s_waitcnt lgkmcnt(0)
	; wave barrier
	s_waitcnt lgkmcnt(0)
	ds_write_b16 v14, v99
	ds_write_b16 v14, v62 offset:162
	ds_write_b16 v14, v63 offset:324
	ds_write_b16 v5, v64
	ds_write_b16 v5, v56 offset:162
	ds_write_b16 v5, v58 offset:324
	;; [unrolled: 3-line block ×4, first 2 shown]
	ds_write_b16 v61, v67 offset:1458
	ds_write_b16 v61, v50 offset:1620
	;; [unrolled: 1-line block ×3, first 2 shown]
	ds_write_b16 v93, v69
	ds_write_b16 v93, v51 offset:162
	ds_write_b16 v93, v70 offset:324
	ds_write_b16 v94, v71
	ds_write_b16 v94, v47 offset:162
	ds_write_b16 v94, v53 offset:324
	;; [unrolled: 3-line block ×3, first 2 shown]
	ds_write_b16 v96, v22 offset:2916
	ds_write_b16 v96, v24 offset:3078
	;; [unrolled: 1-line block ×3, first 2 shown]
	s_waitcnt lgkmcnt(0)
	; wave barrier
	s_waitcnt lgkmcnt(0)
	v_add_u32_e32 v5, v13, v6
	ds_read_u16 v47, v14
	ds_read_u16 v50, v14 offset:486
	ds_read_u16 v61, v14 offset:612
	;; [unrolled: 1-line block ×7, first 2 shown]
	ds_read_u16 v13, v0
	ds_read_u16 v52, v14 offset:1458
	ds_read_u16 v41, v14 offset:1224
	ds_read_u16 v51, v14 offset:972
	ds_read_u16 v42, v14 offset:738
	ds_read_u16 v60, v14 offset:2556
	ds_read_u16 v63, v14 offset:2682
	ds_read_u16 v54, v14 offset:2430
	ds_read_u16 v64, v14 offset:2196
	ds_read_u16 v55, v14 offset:1944
	ds_read_u16 v65, v14 offset:1710
	ds_read_u16 v59, v5
	ds_read_u16 v66, v14 offset:3168
                                        ; implicit-def: $vgpr0
	s_and_saveexec_b64 s[6:7], s[0:1]
	s_cbranch_execz .LBB0_17
; %bb.16:
	ds_read_u16 v20, v14 offset:864
	ds_read_u16 v21, v14 offset:1350
	;; [unrolled: 1-line block ×5, first 2 shown]
	ds_read_u16 v19, v97
	ds_read_u16 v0, v14 offset:3294
.LBB0_17:
	s_or_b64 exec, exec, s[6:7]
	s_and_saveexec_b64 s[6:7], vcc
	s_cbranch_execz .LBB0_20
; %bb.18:
	v_mul_i32_i24_e32 v5, 6, v10
	v_mov_b32_e32 v6, 0
	v_lshlrev_b64 v[67:68], 2, v[5:6]
	v_mov_b32_e32 v5, s9
	v_add_co_u32_e32 v71, vcc, s8, v67
	v_addc_co_u32_e32 v72, vcc, v5, v68, vcc
	global_load_dwordx4 v[67:70], v[71:72], off offset:960
	global_load_dwordx2 v[75:76], v[71:72], off offset:976
	v_mul_i32_i24_e32 v9, 6, v9
	v_mov_b32_e32 v10, v6
	v_mul_lo_u32 v14, s5, v3
	v_mul_lo_u32 v71, s4, v4
	v_mad_u64_u32 v[3:4], s[4:5], s4, v3, 0
	v_lshlrev_b64 v[9:10], 2, v[9:10]
	s_movk_i32 s16, 0x3a52
	v_add_co_u32_e32 v9, vcc, s8, v9
	v_addc_co_u32_e32 v10, vcc, v5, v10, vcc
	v_add3_u32 v4, v4, v71, v14
	global_load_dwordx4 v[71:74], v[9:10], off offset:960
	global_load_dwordx2 v[77:78], v[9:10], off offset:976
	s_movk_i32 s5, 0x3574
	s_mov_b32 s6, 0xbcab
	s_movk_i32 s4, 0x370e
	s_mov_b32 s12, 0xb9e0
	s_mov_b32 s11, 0xb574
	s_movk_i32 s13, 0x39e0
	s_movk_i32 s10, 0x3b00
	v_mul_u32_u24_e32 v79, 6, v7
	s_mov_b32 s17, 0x86d90545
	v_lshlrev_b64 v[3:4], 2, v[3:4]
	v_lshlrev_b64 v[1:2], 2, v[1:2]
	s_movk_i32 s7, 0x2b26
	s_waitcnt vmcnt(3) lgkmcnt(8)
	v_mul_f16_sdwa v5, v42, v67 dst_sel:DWORD dst_unused:UNUSED_PAD src0_sel:DWORD src1_sel:WORD_1
	s_waitcnt vmcnt(2) lgkmcnt(0)
	v_mul_f16_sdwa v9, v66, v76 dst_sel:DWORD dst_unused:UNUSED_PAD src0_sel:DWORD src1_sel:WORD_1
	v_mul_f16_sdwa v10, v64, v70 dst_sel:DWORD dst_unused:UNUSED_PAD src0_sel:DWORD src1_sel:WORD_1
	;; [unrolled: 1-line block ×11, first 2 shown]
	v_fma_f16 v5, v36, v67, -v5
	v_fma_f16 v9, v39, v76, -v9
	;; [unrolled: 1-line block ×6, first 2 shown]
	v_fma_f16 v36, v66, v76, v82
	v_fma_f16 v37, v42, v67, v83
	;; [unrolled: 1-line block ×6, first 2 shown]
	v_sub_f16_e32 v63, v5, v9
	v_sub_f16_e32 v64, v10, v14
	v_add_f16_e32 v66, v37, v36
	v_add_f16_e32 v67, v39, v38
	;; [unrolled: 1-line block ×6, first 2 shown]
	v_sub_f16_e32 v65, v34, v35
	v_sub_f16_e32 v9, v39, v38
	;; [unrolled: 1-line block ×3, first 2 shown]
	v_add_f16_e32 v39, v66, v68
	v_add_f16_e32 v75, v69, v14
	v_sub_f16_e32 v34, v37, v36
	v_sub_f16_e32 v10, v63, v64
	;; [unrolled: 1-line block ×3, first 2 shown]
	v_add_f16_e32 v36, v64, v65
	v_sub_f16_e32 v37, v66, v67
	v_sub_f16_e32 v64, v69, v5
	v_sub_f16_e32 v70, v5, v14
	v_mul_f16_e32 v38, 0x2b26, v38
	v_add_f16_e32 v39, v67, v39
	v_add_f16_e32 v5, v5, v75
	v_mul_f16_e32 v35, 0xb846, v35
	v_add_f16_e32 v76, v63, v36
	v_mul_f16_e32 v80, 0x3a52, v37
	v_mul_f16_e32 v70, 0x2b26, v70
	v_fma_f16 v81, v37, s16, v38
	v_add_f16_e32 v36, v13, v39
	v_add_f16_e32 v37, v33, v5
	v_fma_f16 v75, v10, s5, v35
	v_fma_f16 v13, v64, s16, v70
	;; [unrolled: 1-line block ×4, first 2 shown]
	v_sub_f16_e32 v41, v41, v42
	v_mul_f16_e32 v67, 0x3a52, v64
	v_fma_f16 v64, v76, s4, v75
	v_add_f16_e32 v75, v81, v33
	v_add_f16_e32 v81, v13, v39
	v_sub_f16_e32 v13, v34, v9
	v_sub_f16_e32 v42, v9, v41
	v_add_f16_e32 v9, v9, v41
	v_sub_f16_e32 v63, v65, v63
	v_sub_f16_e32 v69, v14, v69
	v_add_f16_e32 v83, v34, v9
	v_mul_f16_e32 v65, 0x3b00, v63
	v_fma_f16 v14, v69, s12, -v67
	v_sub_f16_e32 v34, v41, v34
	v_mul_f16_e32 v42, 0xb846, v42
	v_fma_f16 v10, v10, s11, -v65
	v_sub_f16_e32 v66, v68, v66
	v_add_f16_e32 v67, v14, v39
	v_mul_f16_e32 v14, 0x3b00, v34
	v_fma_f16 v82, v13, s5, v42
	v_fma_f16 v65, v76, s4, v10
	v_fma_f16 v10, v66, s12, -v80
	v_fma_f16 v13, v13, s11, -v14
	;; [unrolled: 1-line block ×3, first 2 shown]
	v_add_f16_e32 v68, v10, v33
	v_add_f16_e32 v38, v14, v33
	v_fma_f16 v14, v63, s10, -v35
	v_fma_f16 v33, v34, s10, -v42
	v_fma_f16 v35, v76, s4, v14
	v_fma_f16 v42, v83, s4, v33
	v_fma_f16 v33, v69, s13, -v70
	s_waitcnt vmcnt(1)
	v_mul_f16_sdwa v63, v61, v71 dst_sel:DWORD dst_unused:UNUSED_PAD src0_sel:DWORD src1_sel:WORD_1
	v_add_f16_e32 v10, v65, v68
	v_fma_f16 v41, v83, s4, v13
	v_sub_f16_e32 v14, v38, v35
	v_add_f16_e32 v39, v33, v39
	v_add_f16_e32 v34, v35, v38
	v_sub_f16_e32 v38, v68, v65
	v_fma_f16 v65, v48, v71, -v63
	s_waitcnt vmcnt(0)
	v_mul_f16_sdwa v63, v62, v78 dst_sel:DWORD dst_unused:UNUSED_PAD src0_sel:DWORD src1_sel:WORD_1
	v_add_f16_e32 v5, v64, v75
	v_sub_f16_e32 v13, v67, v41
	v_add_f16_e32 v33, v42, v39
	v_sub_f16_e32 v35, v39, v42
	;; [unrolled: 2-line block ×3, first 2 shown]
	v_fma_f16 v66, v49, v78, -v63
	v_mul_f16_sdwa v63, v57, v74 dst_sel:DWORD dst_unused:UNUSED_PAD src0_sel:DWORD src1_sel:WORD_1
	v_mul_f16_sdwa v64, v56, v72 dst_sel:DWORD dst_unused:UNUSED_PAD src0_sel:DWORD src1_sel:WORD_1
	v_fma_f16 v68, v46, v74, -v63
	v_mul_f16_sdwa v63, v58, v73 dst_sel:DWORD dst_unused:UNUSED_PAD src0_sel:DWORD src1_sel:WORD_1
	v_fma_f16 v75, v44, v72, -v64
	;; [unrolled: 2-line block ×3, first 2 shown]
	v_fma_f16 v76, v45, v77, -v64
	v_sub_f16_e32 v63, v68, v69
	v_sub_f16_e32 v80, v75, v76
	v_fma_f16 v82, v83, s4, v82
	v_sub_f16_e32 v67, v65, v66
	v_sub_f16_e32 v64, v63, v80
	;; [unrolled: 1-line block ×3, first 2 shown]
	v_add_f16_e32 v42, v82, v81
	v_sub_f16_e32 v70, v67, v63
	v_mul_f16_e32 v81, 0xb846, v64
	v_add_f16_e32 v63, v63, v80
	v_mul_f16_sdwa v48, v48, v71 dst_sel:DWORD dst_unused:UNUSED_PAD src0_sel:DWORD src1_sel:WORD_1
	v_fma_f16 v64, v70, s5, v81
	v_add_f16_e32 v82, v67, v63
	v_mul_f16_sdwa v49, v49, v78 dst_sel:DWORD dst_unused:UNUSED_PAD src0_sel:DWORD src1_sel:WORD_1
	v_fma_f16 v71, v61, v71, v48
	v_lshlrev_b32_e32 v48, 2, v79
	v_fma_f16 v83, v82, s4, v64
	v_fma_f16 v78, v62, v78, v49
	global_load_dwordx4 v[61:64], v48, s[8:9] offset:960
	v_mul_f16_sdwa v45, v45, v77 dst_sel:DWORD dst_unused:UNUSED_PAD src0_sel:DWORD src1_sel:WORD_1
	global_load_dwordx2 v[48:49], v48, s[8:9] offset:976
	v_mul_f16_sdwa v44, v44, v72 dst_sel:DWORD dst_unused:UNUSED_PAD src0_sel:DWORD src1_sel:WORD_1
	v_mul_f16_sdwa v40, v40, v73 dst_sel:DWORD dst_unused:UNUSED_PAD src0_sel:DWORD src1_sel:WORD_1
	;; [unrolled: 1-line block ×3, first 2 shown]
	v_fma_f16 v45, v60, v77, v45
	v_fma_f16 v44, v56, v72, v44
	v_add_f16_e32 v79, v71, v78
	v_fma_f16 v40, v58, v73, v40
	v_fma_f16 v46, v57, v74, v46
	v_add_f16_e32 v56, v44, v45
	v_add_f16_e32 v57, v46, v40
	;; [unrolled: 1-line block ×5, first 2 shown]
	v_sub_f16_e32 v58, v79, v57
	v_sub_f16_e32 v60, v57, v56
	v_add_f16_e32 v57, v57, v72
	v_add_f16_e32 v66, v68, v69
	;; [unrolled: 1-line block ×3, first 2 shown]
	v_sub_f16_e32 v71, v71, v78
	v_sub_f16_e32 v40, v46, v40
	;; [unrolled: 1-line block ×3, first 2 shown]
	v_mul_f16_e32 v73, 0x3a52, v58
	v_mul_f16_e32 v60, 0x2b26, v60
	v_add_f16_e32 v59, v59, v57
	v_sub_f16_e32 v68, v65, v66
	v_sub_f16_e32 v75, v66, v74
	v_add_f16_e32 v66, v66, v76
	v_sub_f16_e32 v46, v71, v40
	v_sub_f16_e32 v45, v40, v44
	;; [unrolled: 3-line block ×3, first 2 shown]
	v_fma_f16 v58, v58, s16, v60
	v_fma_f16 v57, v57, s6, v59
	v_mul_f16_e32 v69, 0x3a52, v68
	v_mul_f16_e32 v75, 0x2b26, v75
	v_add_f16_e32 v43, v43, v66
	v_mul_f16_e32 v45, 0xb846, v45
	v_add_f16_e32 v40, v71, v40
	v_sub_f16_e32 v67, v80, v67
	v_fma_f16 v73, v56, s12, -v73
	v_sub_f16_e32 v65, v74, v65
	v_mul_f16_e32 v71, 0x3b00, v44
	v_fma_f16 v56, v56, s13, -v60
	v_add_f16_e32 v58, v58, v57
	v_fma_f16 v68, v68, s16, v75
	v_fma_f16 v66, v66, s6, v43
	;; [unrolled: 1-line block ×3, first 2 shown]
	v_add_f16_e32 v73, v73, v57
	v_fma_f16 v69, v65, s12, -v69
	v_fma_f16 v46, v46, s11, -v71
	v_add_f16_e32 v56, v56, v57
	v_fma_f16 v57, v67, s10, -v81
	v_fma_f16 v44, v44, s10, -v45
	v_add_f16_e32 v68, v68, v66
	v_fma_f16 v76, v40, s4, v76
	v_add_f16_e32 v69, v69, v66
	v_fma_f16 v46, v40, s4, v46
	v_fma_f16 v57, v82, s4, v57
	;; [unrolled: 1-line block ×3, first 2 shown]
	v_fma_f16 v44, v65, s13, -v75
	v_add_f16_e32 v72, v83, v58
	v_sub_f16_e32 v77, v68, v76
	v_sub_f16_e32 v71, v69, v46
	;; [unrolled: 1-line block ×3, first 2 shown]
	v_add_f16_e32 v44, v44, v66
	v_add_f16_e32 v56, v57, v56
	;; [unrolled: 1-line block ×3, first 2 shown]
	v_sub_f16_e32 v57, v58, v83
	v_add_f16_e32 v58, v76, v68
	v_mul_f16_e32 v78, 0x3b00, v67
	v_fma_f16 v70, v70, s11, -v78
	v_fma_f16 v70, v82, s4, v70
	v_add_f16_e32 v78, v70, v73
	v_add_f16_e32 v45, v40, v44
	v_sub_f16_e32 v40, v44, v40
	v_sub_f16_e32 v44, v73, v70
	s_waitcnt vmcnt(1)
	v_mul_f16_sdwa v65, v50, v61 dst_sel:DWORD dst_unused:UNUSED_PAD src0_sel:DWORD src1_sel:WORD_1
	v_mul_f16_sdwa v68, v55, v64 dst_sel:DWORD dst_unused:UNUSED_PAD src0_sel:DWORD src1_sel:WORD_1
	s_waitcnt vmcnt(0)
	v_mul_f16_sdwa v66, v53, v49 dst_sel:DWORD dst_unused:UNUSED_PAD src0_sel:DWORD src1_sel:WORD_1
	v_mul_f16_sdwa v69, v52, v63 dst_sel:DWORD dst_unused:UNUSED_PAD src0_sel:DWORD src1_sel:WORD_1
	v_mul_f16_sdwa v74, v51, v62 dst_sel:DWORD dst_unused:UNUSED_PAD src0_sel:DWORD src1_sel:WORD_1
	v_mul_f16_sdwa v75, v54, v48 dst_sel:DWORD dst_unused:UNUSED_PAD src0_sel:DWORD src1_sel:WORD_1
	v_fma_f16 v65, v27, v61, -v65
	v_fma_f16 v66, v28, v49, -v66
	;; [unrolled: 1-line block ×6, first 2 shown]
	v_mul_f16_sdwa v28, v28, v49 dst_sel:DWORD dst_unused:UNUSED_PAD src0_sel:DWORD src1_sel:WORD_1
	v_mul_f16_sdwa v27, v27, v61 dst_sel:DWORD dst_unused:UNUSED_PAD src0_sel:DWORD src1_sel:WORD_1
	;; [unrolled: 1-line block ×6, first 2 shown]
	v_fma_f16 v28, v53, v49, v28
	v_fma_f16 v27, v50, v61, v27
	v_fma_f16 v30, v52, v63, v30
	v_fma_f16 v32, v55, v64, v32
	v_fma_f16 v31, v54, v48, v31
	v_fma_f16 v29, v51, v62, v29
	v_add_f16_e32 v49, v27, v28
	v_add_f16_e32 v50, v32, v30
	;; [unrolled: 1-line block ×3, first 2 shown]
	v_sub_f16_e32 v52, v49, v50
	v_sub_f16_e32 v51, v50, v48
	v_mul_f16_e32 v53, 0x3a52, v52
	v_mul_f16_e32 v51, 0x2b26, v51
	v_add_f16_e32 v54, v49, v48
	v_sub_f16_e32 v27, v27, v28
	v_sub_f16_e32 v28, v32, v30
	;; [unrolled: 1-line block ×4, first 2 shown]
	v_fma_f16 v52, v52, s16, v51
	v_sub_f16_e32 v30, v27, v28
	v_sub_f16_e32 v31, v28, v29
	v_add_f16_e32 v28, v28, v29
	v_fma_f16 v49, v48, s12, -v53
	v_fma_f16 v48, v48, s13, -v51
	v_mul_hi_u32 v51, v7, s17
	v_add_f16_e32 v61, v68, v69
	v_add_f16_e32 v64, v74, v75
	;; [unrolled: 1-line block ×3, first 2 shown]
	v_sub_f16_e32 v27, v29, v27
	v_sub_f16_e32 v67, v65, v66
	v_add_f16_e32 v55, v65, v66
	v_sub_f16_e32 v65, v61, v64
	v_mul_f16_e32 v31, 0xb846, v31
	v_mul_f16_e32 v29, 0x3b00, v27
	v_sub_f16_e32 v62, v55, v61
	v_mul_f16_e32 v65, 0x2b26, v65
	v_fma_f16 v32, v30, s5, v31
	v_fma_f16 v29, v30, s11, -v29
	v_fma_f16 v27, v27, s10, -v31
	v_mul_f16_e32 v63, 0x3a52, v62
	v_fma_f16 v62, v62, s16, v65
	v_fma_f16 v32, v28, s4, v32
	;; [unrolled: 1-line block ×4, first 2 shown]
	v_lshrrev_b32_e32 v27, 7, v51
	s_movk_i32 s16, 0xf3
	v_mul_lo_u32 v27, v27, s16
	v_add_f16_e32 v66, v55, v64
	v_add_f16_e32 v61, v61, v66
	;; [unrolled: 1-line block ×3, first 2 shown]
	v_sub_f16_e32 v55, v64, v55
	v_fma_f16 v26, v61, s6, v66
	v_fma_f16 v63, v55, s12, -v63
	v_fma_f16 v31, v55, s13, -v65
	v_sub_u32_e32 v55, v7, v27
	v_sub_f16_e32 v70, v68, v69
	v_sub_f16_e32 v76, v74, v75
	v_add_f16_e32 v50, v50, v54
	v_add_f16_e32 v61, v62, v26
	;; [unrolled: 1-line block ×4, first 2 shown]
	v_mad_u64_u32 v[26:27], s[18:19], s2, v55, 0
	v_sub_f16_e32 v73, v67, v70
	v_sub_f16_e32 v79, v70, v76
	v_add_f16_e32 v70, v70, v76
	v_add_f16_e32 v47, v47, v50
	v_mul_f16_e32 v79, 0xb846, v79
	v_add_f16_e32 v70, v67, v70
	v_fma_f16 v50, v50, s6, v47
	v_sub_f16_e32 v67, v76, v67
	v_add_f16_e32 v52, v52, v50
	v_add_f16_e32 v49, v49, v50
	;; [unrolled: 1-line block ×3, first 2 shown]
	v_fma_f16 v50, v67, s10, -v79
	v_fma_f16 v50, v70, s4, v50
	v_add_f16_e32 v51, v28, v31
	v_sub_f16_e32 v31, v31, v28
	v_mad_u64_u32 v[27:28], s[18:19], s3, v55, v[27:28]
	v_sub_f16_e32 v62, v61, v32
	v_sub_f16_e32 v30, v63, v29
	;; [unrolled: 1-line block ×3, first 2 shown]
	v_add_f16_e32 v48, v50, v48
	v_add_f16_e32 v50, v29, v63
	;; [unrolled: 1-line block ×3, first 2 shown]
	v_mov_b32_e32 v28, s15
	v_add_co_u32_e32 v29, vcc, s14, v3
	v_add_u32_e32 v61, 0xf3, v55
	v_addc_co_u32_e32 v28, vcc, v28, v4, vcc
	v_mad_u64_u32 v[3:4], s[14:15], s2, v61, 0
	v_add_co_u32_e32 v1, vcc, v29, v1
	v_addc_co_u32_e32 v2, vcc, v28, v2, vcc
	v_lshlrev_b64 v[26:27], 2, v[26:27]
	v_mad_u64_u32 v[28:29], s[14:15], s3, v61, v[4:5]
	v_add_co_u32_e32 v26, vcc, v1, v26
	v_addc_co_u32_e32 v27, vcc, v2, v27, vcc
	v_pack_b32_f16 v4, v66, v47
	global_store_dword v[26:27], v4, off
	v_mov_b32_e32 v4, v28
	v_add_u32_e32 v28, 0x1e6, v55
	v_mad_u64_u32 v[26:27], s[14:15], s2, v28, 0
	v_add_u32_e32 v47, 0x2d9, v55
	v_fma_f16 v80, v73, s5, v79
	v_mad_u64_u32 v[27:28], s[14:15], s3, v28, v[27:28]
	v_lshlrev_b64 v[3:4], 2, v[3:4]
	v_mad_u64_u32 v[28:29], s[14:15], s2, v47, 0
	v_fma_f16 v80, v70, s4, v80
	v_add_f16_e32 v54, v80, v52
	v_sub_f16_e32 v52, v52, v80
	v_add_co_u32_e32 v3, vcc, v1, v3
	v_addc_co_u32_e32 v4, vcc, v2, v4, vcc
	v_pack_b32_f16 v32, v32, v52
	global_store_dword v[3:4], v32, off
	v_lshlrev_b64 v[3:4], 2, v[26:27]
	v_mov_b32_e32 v26, v29
	v_mul_f16_e32 v68, 0x3b00, v67
	v_mad_u64_u32 v[26:27], s[14:15], s3, v47, v[26:27]
	v_fma_f16 v68, v73, s11, -v68
	v_fma_f16 v68, v70, s4, v68
	v_add_f16_e32 v53, v68, v49
	v_sub_f16_e32 v49, v49, v68
	v_add_co_u32_e32 v3, vcc, v1, v3
	v_addc_co_u32_e32 v4, vcc, v2, v4, vcc
	v_pack_b32_f16 v27, v50, v49
	v_mov_b32_e32 v29, v26
	global_store_dword v[3:4], v27, off
	v_lshlrev_b64 v[3:4], 2, v[28:29]
	v_add_u32_e32 v28, 0x3cc, v55
	v_mad_u64_u32 v[26:27], s[14:15], s2, v28, 0
	v_add_u32_e32 v32, 0x4bf, v55
	v_add_co_u32_e32 v3, vcc, v1, v3
	v_mad_u64_u32 v[27:28], s[14:15], s3, v28, v[27:28]
	v_mad_u64_u32 v[28:29], s[14:15], s2, v32, 0
	v_addc_co_u32_e32 v4, vcc, v2, v4, vcc
	v_pack_b32_f16 v31, v31, v48
	global_store_dword v[3:4], v31, off
	v_lshlrev_b64 v[3:4], 2, v[26:27]
	v_mov_b32_e32 v26, v29
	v_mad_u64_u32 v[26:27], s[14:15], s3, v32, v[26:27]
	v_add_co_u32_e32 v3, vcc, v1, v3
	v_addc_co_u32_e32 v4, vcc, v2, v4, vcc
	v_pack_b32_f16 v27, v51, v64
	v_mov_b32_e32 v29, v26
	global_store_dword v[3:4], v27, off
	v_lshlrev_b64 v[3:4], 2, v[28:29]
	v_pack_b32_f16 v28, v30, v53
	v_add_u32_e32 v30, 63, v7
	v_mul_hi_u32 v31, v30, s17
	v_add_co_u32_e32 v3, vcc, v1, v3
	v_add_u32_e32 v29, 0x5b2, v55
	v_addc_co_u32_e32 v4, vcc, v2, v4, vcc
	v_mad_u64_u32 v[26:27], s[14:15], s2, v29, 0
	global_store_dword v[3:4], v28, off
	v_lshrrev_b32_e32 v28, 7, v31
	v_mul_lo_u32 v31, v28, s16
	v_mov_b32_e32 v3, v27
	v_mad_u64_u32 v[3:4], s[14:15], s3, v29, v[3:4]
	v_sub_u32_e32 v4, v30, v31
	s_movk_i32 s18, 0x6a5
	v_mad_u64_u32 v[28:29], s[14:15], v28, s18, v[4:5]
	v_mov_b32_e32 v27, v3
	v_lshlrev_b64 v[3:4], 2, v[26:27]
	v_mad_u64_u32 v[26:27], s[14:15], s2, v28, 0
	v_add_u32_e32 v47, 0xf3, v28
	v_add_co_u32_e32 v3, vcc, v1, v3
	v_mad_u64_u32 v[29:30], s[14:15], s3, v28, v[27:28]
	v_mad_u64_u32 v[30:31], s[14:15], s2, v47, 0
	v_addc_co_u32_e32 v4, vcc, v2, v4, vcc
	v_pack_b32_f16 v32, v62, v54
	v_mov_b32_e32 v27, v29
	global_store_dword v[3:4], v32, off
	v_lshlrev_b64 v[3:4], 2, v[26:27]
	v_mov_b32_e32 v26, v31
	v_mad_u64_u32 v[26:27], s[14:15], s3, v47, v[26:27]
	v_add_co_u32_e32 v3, vcc, v1, v3
	v_addc_co_u32_e32 v4, vcc, v2, v4, vcc
	v_pack_b32_f16 v27, v43, v59
	v_add_u32_e32 v29, 0x1e6, v28
	global_store_dword v[3:4], v27, off
	v_mov_b32_e32 v31, v26
	v_mad_u64_u32 v[26:27], s[14:15], s2, v29, 0
	v_lshlrev_b64 v[3:4], 2, v[30:31]
	v_add_u32_e32 v43, 0x2d9, v28
	v_mad_u64_u32 v[29:30], s[14:15], s3, v29, v[27:28]
	v_mad_u64_u32 v[30:31], s[14:15], s2, v43, 0
	v_add_co_u32_e32 v3, vcc, v1, v3
	v_addc_co_u32_e32 v4, vcc, v2, v4, vcc
	v_pack_b32_f16 v32, v58, v57
	v_mov_b32_e32 v27, v29
	global_store_dword v[3:4], v32, off
	v_lshlrev_b64 v[3:4], 2, v[26:27]
	v_mov_b32_e32 v26, v31
	v_mad_u64_u32 v[26:27], s[14:15], s3, v43, v[26:27]
	v_add_co_u32_e32 v3, vcc, v1, v3
	v_addc_co_u32_e32 v4, vcc, v2, v4, vcc
	v_pack_b32_f16 v27, v46, v44
	v_add_u32_e32 v29, 0x3cc, v28
	global_store_dword v[3:4], v27, off
	v_mov_b32_e32 v31, v26
	v_mad_u64_u32 v[26:27], s[14:15], s2, v29, 0
	v_lshlrev_b64 v[3:4], 2, v[30:31]
	v_pack_b32_f16 v32, v40, v56
	v_mad_u64_u32 v[29:30], s[14:15], s3, v29, v[27:28]
	v_add_u32_e32 v40, 0x4bf, v28
	v_mad_u64_u32 v[30:31], s[14:15], s2, v40, 0
	v_add_co_u32_e32 v3, vcc, v1, v3
	v_addc_co_u32_e32 v4, vcc, v2, v4, vcc
	v_mov_b32_e32 v27, v29
	global_store_dword v[3:4], v32, off
	v_lshlrev_b64 v[3:4], 2, v[26:27]
	v_mov_b32_e32 v26, v31
	v_mad_u64_u32 v[26:27], s[14:15], s3, v40, v[26:27]
	v_add_co_u32_e32 v3, vcc, v1, v3
	v_addc_co_u32_e32 v4, vcc, v2, v4, vcc
	v_pack_b32_f16 v27, v45, v60
	v_mov_b32_e32 v31, v26
	v_add_u32_e32 v29, 0x7e, v7
	global_store_dword v[3:4], v27, off
	v_lshlrev_b64 v[3:4], 2, v[30:31]
	v_mul_hi_u32 v30, v29, s17
	v_add_u32_e32 v31, 0x5b2, v28
	v_mad_u64_u32 v[26:27], s[14:15], s2, v31, 0
	v_lshrrev_b32_e32 v30, 7, v30
	v_mul_lo_u32 v28, v30, s16
	v_add_co_u32_e32 v3, vcc, v1, v3
	v_addc_co_u32_e32 v4, vcc, v2, v4, vcc
	v_sub_u32_e32 v28, v29, v28
	v_mad_u64_u32 v[28:29], s[14:15], v30, s18, v[28:29]
	v_pack_b32_f16 v32, v71, v78
	global_store_dword v[3:4], v32, off
	v_mad_u64_u32 v[29:30], s[14:15], s3, v31, v[27:28]
	v_mad_u64_u32 v[30:31], s[14:15], s2, v28, 0
	v_mov_b32_e32 v27, v29
	v_lshlrev_b64 v[3:4], 2, v[26:27]
	v_mov_b32_e32 v26, v31
	v_mad_u64_u32 v[26:27], s[14:15], s3, v28, v[26:27]
	v_add_co_u32_e32 v3, vcc, v1, v3
	v_addc_co_u32_e32 v4, vcc, v2, v4, vcc
	v_pack_b32_f16 v27, v77, v72
	v_add_u32_e32 v29, 0xf3, v28
	global_store_dword v[3:4], v27, off
	v_mov_b32_e32 v31, v26
	v_mad_u64_u32 v[26:27], s[14:15], s2, v29, 0
	v_lshlrev_b64 v[3:4], 2, v[30:31]
	v_pack_b32_f16 v32, v37, v36
	v_mad_u64_u32 v[29:30], s[14:15], s3, v29, v[27:28]
	v_add_u32_e32 v36, 0x1e6, v28
	v_mad_u64_u32 v[30:31], s[14:15], s2, v36, 0
	v_add_co_u32_e32 v3, vcc, v1, v3
	v_addc_co_u32_e32 v4, vcc, v2, v4, vcc
	v_mov_b32_e32 v27, v29
	global_store_dword v[3:4], v32, off
	v_lshlrev_b64 v[3:4], 2, v[26:27]
	v_mov_b32_e32 v26, v31
	v_mad_u64_u32 v[26:27], s[14:15], s3, v36, v[26:27]
	v_add_co_u32_e32 v3, vcc, v1, v3
	v_addc_co_u32_e32 v4, vcc, v2, v4, vcc
	v_pack_b32_f16 v27, v42, v41
	v_add_u32_e32 v29, 0x2d9, v28
	global_store_dword v[3:4], v27, off
	v_mov_b32_e32 v31, v26
	v_mad_u64_u32 v[26:27], s[14:15], s2, v29, 0
	v_lshlrev_b64 v[3:4], 2, v[30:31]
	v_add_u32_e32 v36, 0x3cc, v28
	v_mad_u64_u32 v[29:30], s[14:15], s3, v29, v[27:28]
	v_mad_u64_u32 v[30:31], s[14:15], s2, v36, 0
	v_add_co_u32_e32 v3, vcc, v1, v3
	v_addc_co_u32_e32 v4, vcc, v2, v4, vcc
	v_pack_b32_f16 v32, v39, v38
	v_mov_b32_e32 v27, v29
	global_store_dword v[3:4], v32, off
	v_lshlrev_b64 v[3:4], 2, v[26:27]
	v_mov_b32_e32 v26, v31
	v_mad_u64_u32 v[26:27], s[14:15], s3, v36, v[26:27]
	v_add_co_u32_e32 v3, vcc, v1, v3
	v_addc_co_u32_e32 v4, vcc, v2, v4, vcc
	v_pack_b32_f16 v27, v35, v34
	v_add_u32_e32 v29, 0x4bf, v28
	global_store_dword v[3:4], v27, off
	v_mov_b32_e32 v31, v26
	v_mad_u64_u32 v[26:27], s[14:15], s2, v29, 0
	v_pack_b32_f16 v32, v33, v14
	v_lshlrev_b64 v[3:4], 2, v[30:31]
	v_mov_b32_e32 v14, v27
	v_mad_u64_u32 v[29:30], s[14:15], s3, v29, v[14:15]
	v_add_u32_e32 v28, 0x5b2, v28
	v_mad_u64_u32 v[30:31], s[14:15], s2, v28, 0
	v_add_co_u32_e32 v3, vcc, v1, v3
	v_addc_co_u32_e32 v4, vcc, v2, v4, vcc
	v_mov_b32_e32 v27, v29
	v_mov_b32_e32 v14, v31
	global_store_dword v[3:4], v32, off
	v_lshlrev_b64 v[3:4], 2, v[26:27]
	v_mad_u64_u32 v[26:27], s[14:15], s3, v28, v[14:15]
	v_add_co_u32_e32 v3, vcc, v1, v3
	v_addc_co_u32_e32 v4, vcc, v2, v4, vcc
	v_pack_b32_f16 v10, v13, v10
	v_mov_b32_e32 v31, v26
	global_store_dword v[3:4], v10, off
	v_lshlrev_b64 v[3:4], 2, v[30:31]
	v_pack_b32_f16 v5, v9, v5
	v_add_co_u32_e32 v3, vcc, v1, v3
	v_addc_co_u32_e32 v4, vcc, v2, v4, vcc
	global_store_dword v[3:4], v5, off
	v_add_u32_e32 v3, 0xbd, v7
	v_cmp_gt_u32_e32 vcc, s16, v3
	s_and_b64 exec, exec, vcc
	s_cbranch_execz .LBB0_20
; %bb.19:
	v_subrev_u32_e32 v4, 54, v7
	v_cndmask_b32_e64 v4, v4, v8, s[0:1]
	v_mul_i32_i24_e32 v5, 6, v4
	v_lshlrev_b64 v[4:5], 2, v[5:6]
	v_mov_b32_e32 v6, s9
	v_add_co_u32_e32 v4, vcc, s8, v4
	v_addc_co_u32_e32 v5, vcc, v6, v5, vcc
	global_load_dwordx4 v[26:29], v[4:5], off offset:960
	global_load_dwordx2 v[8:9], v[4:5], off offset:976
	s_waitcnt vmcnt(1)
	v_mul_f16_sdwa v4, v20, v26 dst_sel:DWORD dst_unused:UNUSED_PAD src0_sel:DWORD src1_sel:WORD_1
	v_mul_f16_sdwa v5, v11, v26 dst_sel:DWORD dst_unused:UNUSED_PAD src0_sel:DWORD src1_sel:WORD_1
	;; [unrolled: 1-line block ×6, first 2 shown]
	s_waitcnt vmcnt(0)
	v_mul_f16_sdwa v32, v25, v8 dst_sel:DWORD dst_unused:UNUSED_PAD src0_sel:DWORD src1_sel:WORD_1
	v_mul_f16_sdwa v33, v16, v8 dst_sel:DWORD dst_unused:UNUSED_PAD src0_sel:DWORD src1_sel:WORD_1
	;; [unrolled: 1-line block ×6, first 2 shown]
	v_fma_f16 v4, v11, v26, -v4
	v_fma_f16 v5, v20, v26, v5
	v_fma_f16 v6, v12, v27, -v6
	v_fma_f16 v10, v21, v27, v10
	v_fma_f16 v11, v23, v28, -v13
	v_fma_f16 v13, v15, v29, -v30
	;; [unrolled: 1-line block ×3, first 2 shown]
	v_fma_f16 v8, v25, v8, v33
	v_fma_f16 v16, v18, v9, -v34
	v_fma_f16 v0, v0, v9, v35
	v_fma_f16 v12, v22, v28, v14
	;; [unrolled: 1-line block ×3, first 2 shown]
	v_add_f16_e32 v9, v4, v16
	v_add_f16_e32 v18, v5, v0
	v_sub_f16_e32 v4, v4, v16
	v_sub_f16_e32 v0, v5, v0
	v_add_f16_e32 v5, v6, v15
	v_add_f16_e32 v16, v10, v8
	v_sub_f16_e32 v6, v6, v15
	v_sub_f16_e32 v8, v10, v8
	;; [unrolled: 4-line block ×4, first 2 shown]
	v_sub_f16_e32 v9, v9, v10
	v_sub_f16_e32 v18, v18, v15
	;; [unrolled: 1-line block ×4, first 2 shown]
	v_add_f16_e32 v22, v11, v6
	v_sub_f16_e32 v24, v11, v6
	v_sub_f16_e32 v6, v6, v4
	v_add_f16_e32 v10, v10, v13
	v_add_f16_e32 v13, v15, v14
	v_sub_f16_e32 v11, v4, v11
	v_add_f16_e32 v4, v22, v4
	v_mul_f16_e32 v9, 0x3a52, v9
	v_mul_f16_e32 v14, 0x3a52, v18
	;; [unrolled: 1-line block ×6, first 2 shown]
	v_add_f16_e32 v17, v17, v10
	v_add_f16_e32 v19, v19, v13
	v_fma_f16 v5, v5, s7, v9
	v_fma_f16 v16, v16, s7, v14
	v_fma_f16 v15, v20, s13, -v15
	v_fma_f16 v18, v21, s13, -v18
	;; [unrolled: 1-line block ×4, first 2 shown]
	v_fma_f16 v20, v11, s5, v22
	v_fma_f16 v6, v6, s10, -v22
	v_fma_f16 v11, v11, s11, -v24
	v_fma_f16 v10, v10, s6, v17
	v_fma_f16 v13, v13, s6, v19
	v_add_f16_e32 v23, v12, v8
	v_sub_f16_e32 v25, v12, v8
	v_sub_f16_e32 v8, v8, v0
	v_add_f16_e32 v22, v5, v10
	v_add_f16_e32 v16, v16, v13
	;; [unrolled: 1-line block ×6, first 2 shown]
	v_fma_f16 v13, v4, s4, v20
	v_fma_f16 v6, v4, s4, v6
	;; [unrolled: 1-line block ×3, first 2 shown]
	v_mad_u64_u32 v[4:5], s[0:1], s2, v3, 0
	v_sub_f16_e32 v12, v0, v12
	v_add_f16_e32 v0, v23, v0
	v_mul_f16_e32 v23, 0xb846, v25
	v_mul_f16_e32 v25, 0x3b00, v8
	v_fma_f16 v21, v12, s5, v23
	v_fma_f16 v8, v8, s10, -v23
	v_fma_f16 v12, v12, s11, -v25
	v_fma_f16 v14, v0, s4, v21
	v_fma_f16 v8, v0, s4, v8
	;; [unrolled: 1-line block ×3, first 2 shown]
	v_add_f16_e32 v21, v0, v9
	v_sub_f16_e32 v26, v9, v0
	v_mov_b32_e32 v0, v5
	v_add_f16_e32 v25, v6, v18
	v_sub_f16_e32 v18, v18, v6
	v_mad_u64_u32 v[5:6], s[0:1], s3, v3, v[0:1]
	v_sub_f16_e32 v24, v15, v8
	v_add_f16_e32 v15, v8, v15
	v_add_u32_e32 v8, 0x1b0, v7
	v_lshlrev_b64 v[3:4], 2, v[4:5]
	v_mad_u64_u32 v[5:6], s[0:1], s2, v8, 0
	v_sub_f16_e32 v20, v16, v13
	v_add_f16_e32 v13, v13, v16
	v_mov_b32_e32 v0, v6
	v_pack_b32_f16 v16, v17, v19
	v_mad_u64_u32 v[8:9], s[0:1], s3, v8, v[0:1]
	v_add_u32_e32 v17, 0x2a3, v7
	v_sub_f16_e32 v23, v10, v11
	v_add_f16_e32 v11, v11, v10
	v_mad_u64_u32 v[9:10], s[0:1], s2, v17, 0
	v_add_co_u32_e32 v3, vcc, v1, v3
	v_addc_co_u32_e32 v4, vcc, v2, v4, vcc
	v_mov_b32_e32 v6, v8
	v_mov_b32_e32 v0, v10
	global_store_dword v[3:4], v16, off
	v_lshlrev_b64 v[3:4], 2, v[5:6]
	v_mad_u64_u32 v[5:6], s[0:1], s3, v17, v[0:1]
	v_add_u32_e32 v8, 0x396, v7
	v_add_f16_e32 v12, v14, v22
	v_mov_b32_e32 v10, v5
	v_mad_u64_u32 v[5:6], s[0:1], s2, v8, 0
	v_add_co_u32_e32 v3, vcc, v1, v3
	v_addc_co_u32_e32 v4, vcc, v2, v4, vcc
	v_pack_b32_f16 v0, v12, v20
	global_store_dword v[3:4], v0, off
	v_mov_b32_e32 v0, v6
	v_lshlrev_b64 v[3:4], 2, v[9:10]
	v_mad_u64_u32 v[8:9], s[0:1], s3, v8, v[0:1]
	v_add_u32_e32 v16, 0x489, v7
	v_mad_u64_u32 v[9:10], s[0:1], s2, v16, 0
	v_add_co_u32_e32 v3, vcc, v1, v3
	v_addc_co_u32_e32 v4, vcc, v2, v4, vcc
	v_pack_b32_f16 v12, v21, v23
	v_mov_b32_e32 v6, v8
	v_mov_b32_e32 v0, v10
	global_store_dword v[3:4], v12, off
	v_lshlrev_b64 v[3:4], 2, v[5:6]
	v_mad_u64_u32 v[5:6], s[0:1], s3, v16, v[0:1]
	v_add_u32_e32 v8, 0x57c, v7
	v_add_co_u32_e32 v3, vcc, v1, v3
	v_mov_b32_e32 v10, v5
	v_mad_u64_u32 v[5:6], s[0:1], s2, v8, 0
	v_addc_co_u32_e32 v4, vcc, v2, v4, vcc
	v_pack_b32_f16 v0, v24, v25
	global_store_dword v[3:4], v0, off
	v_mov_b32_e32 v0, v6
	v_lshlrev_b64 v[3:4], 2, v[9:10]
	v_mad_u64_u32 v[8:9], s[0:1], s3, v8, v[0:1]
	v_add_u32_e32 v7, 0x66f, v7
	v_mad_u64_u32 v[9:10], s[0:1], s2, v7, 0
	v_add_co_u32_e32 v3, vcc, v1, v3
	v_addc_co_u32_e32 v4, vcc, v2, v4, vcc
	v_pack_b32_f16 v12, v15, v18
	v_mov_b32_e32 v6, v8
	v_mov_b32_e32 v0, v10
	global_store_dword v[3:4], v12, off
	v_lshlrev_b64 v[3:4], 2, v[5:6]
	v_mad_u64_u32 v[5:6], s[0:1], s3, v7, v[0:1]
	v_add_co_u32_e32 v3, vcc, v1, v3
	v_addc_co_u32_e32 v4, vcc, v2, v4, vcc
	v_pack_b32_f16 v0, v26, v11
	v_mov_b32_e32 v10, v5
	global_store_dword v[3:4], v0, off
	v_lshlrev_b64 v[3:4], 2, v[9:10]
	v_sub_f16_e32 v14, v22, v14
	v_add_co_u32_e32 v0, vcc, v1, v3
	v_addc_co_u32_e32 v1, vcc, v2, v4, vcc
	v_pack_b32_f16 v2, v14, v13
	global_store_dword v[0:1], v2, off
.LBB0_20:
	s_endpgm
	.section	.rodata,"a",@progbits
	.p2align	6, 0x0
	.amdhsa_kernel fft_rtc_fwd_len1701_factors_3_3_3_3_3_7_wgs_63_tpt_63_halfLds_half_op_CI_CI_sbrr_dirReg
		.amdhsa_group_segment_fixed_size 0
		.amdhsa_private_segment_fixed_size 0
		.amdhsa_kernarg_size 104
		.amdhsa_user_sgpr_count 6
		.amdhsa_user_sgpr_private_segment_buffer 1
		.amdhsa_user_sgpr_dispatch_ptr 0
		.amdhsa_user_sgpr_queue_ptr 0
		.amdhsa_user_sgpr_kernarg_segment_ptr 1
		.amdhsa_user_sgpr_dispatch_id 0
		.amdhsa_user_sgpr_flat_scratch_init 0
		.amdhsa_user_sgpr_private_segment_size 0
		.amdhsa_uses_dynamic_stack 0
		.amdhsa_system_sgpr_private_segment_wavefront_offset 0
		.amdhsa_system_sgpr_workgroup_id_x 1
		.amdhsa_system_sgpr_workgroup_id_y 0
		.amdhsa_system_sgpr_workgroup_id_z 0
		.amdhsa_system_sgpr_workgroup_info 0
		.amdhsa_system_vgpr_workitem_id 0
		.amdhsa_next_free_vgpr 123
		.amdhsa_next_free_sgpr 32
		.amdhsa_reserve_vcc 1
		.amdhsa_reserve_flat_scratch 0
		.amdhsa_float_round_mode_32 0
		.amdhsa_float_round_mode_16_64 0
		.amdhsa_float_denorm_mode_32 3
		.amdhsa_float_denorm_mode_16_64 3
		.amdhsa_dx10_clamp 1
		.amdhsa_ieee_mode 1
		.amdhsa_fp16_overflow 0
		.amdhsa_exception_fp_ieee_invalid_op 0
		.amdhsa_exception_fp_denorm_src 0
		.amdhsa_exception_fp_ieee_div_zero 0
		.amdhsa_exception_fp_ieee_overflow 0
		.amdhsa_exception_fp_ieee_underflow 0
		.amdhsa_exception_fp_ieee_inexact 0
		.amdhsa_exception_int_div_zero 0
	.end_amdhsa_kernel
	.text
.Lfunc_end0:
	.size	fft_rtc_fwd_len1701_factors_3_3_3_3_3_7_wgs_63_tpt_63_halfLds_half_op_CI_CI_sbrr_dirReg, .Lfunc_end0-fft_rtc_fwd_len1701_factors_3_3_3_3_3_7_wgs_63_tpt_63_halfLds_half_op_CI_CI_sbrr_dirReg
                                        ; -- End function
	.section	.AMDGPU.csdata,"",@progbits
; Kernel info:
; codeLenInByte = 20848
; NumSgprs: 36
; NumVgprs: 123
; ScratchSize: 0
; MemoryBound: 0
; FloatMode: 240
; IeeeMode: 1
; LDSByteSize: 0 bytes/workgroup (compile time only)
; SGPRBlocks: 4
; VGPRBlocks: 30
; NumSGPRsForWavesPerEU: 36
; NumVGPRsForWavesPerEU: 123
; Occupancy: 2
; WaveLimiterHint : 1
; COMPUTE_PGM_RSRC2:SCRATCH_EN: 0
; COMPUTE_PGM_RSRC2:USER_SGPR: 6
; COMPUTE_PGM_RSRC2:TRAP_HANDLER: 0
; COMPUTE_PGM_RSRC2:TGID_X_EN: 1
; COMPUTE_PGM_RSRC2:TGID_Y_EN: 0
; COMPUTE_PGM_RSRC2:TGID_Z_EN: 0
; COMPUTE_PGM_RSRC2:TIDIG_COMP_CNT: 0
	.type	__hip_cuid_2e25008e6b07dd4a,@object ; @__hip_cuid_2e25008e6b07dd4a
	.section	.bss,"aw",@nobits
	.globl	__hip_cuid_2e25008e6b07dd4a
__hip_cuid_2e25008e6b07dd4a:
	.byte	0                               ; 0x0
	.size	__hip_cuid_2e25008e6b07dd4a, 1

	.ident	"AMD clang version 19.0.0git (https://github.com/RadeonOpenCompute/llvm-project roc-6.4.0 25133 c7fe45cf4b819c5991fe208aaa96edf142730f1d)"
	.section	".note.GNU-stack","",@progbits
	.addrsig
	.addrsig_sym __hip_cuid_2e25008e6b07dd4a
	.amdgpu_metadata
---
amdhsa.kernels:
  - .args:
      - .actual_access:  read_only
        .address_space:  global
        .offset:         0
        .size:           8
        .value_kind:     global_buffer
      - .offset:         8
        .size:           8
        .value_kind:     by_value
      - .actual_access:  read_only
        .address_space:  global
        .offset:         16
        .size:           8
        .value_kind:     global_buffer
      - .actual_access:  read_only
        .address_space:  global
        .offset:         24
        .size:           8
        .value_kind:     global_buffer
      - .actual_access:  read_only
        .address_space:  global
        .offset:         32
        .size:           8
        .value_kind:     global_buffer
      - .offset:         40
        .size:           8
        .value_kind:     by_value
      - .actual_access:  read_only
        .address_space:  global
        .offset:         48
        .size:           8
        .value_kind:     global_buffer
      - .actual_access:  read_only
        .address_space:  global
        .offset:         56
        .size:           8
        .value_kind:     global_buffer
      - .offset:         64
        .size:           4
        .value_kind:     by_value
      - .actual_access:  read_only
        .address_space:  global
        .offset:         72
        .size:           8
        .value_kind:     global_buffer
      - .actual_access:  read_only
        .address_space:  global
        .offset:         80
        .size:           8
        .value_kind:     global_buffer
      - .actual_access:  read_only
        .address_space:  global
        .offset:         88
        .size:           8
        .value_kind:     global_buffer
      - .actual_access:  write_only
        .address_space:  global
        .offset:         96
        .size:           8
        .value_kind:     global_buffer
    .group_segment_fixed_size: 0
    .kernarg_segment_align: 8
    .kernarg_segment_size: 104
    .language:       OpenCL C
    .language_version:
      - 2
      - 0
    .max_flat_workgroup_size: 63
    .name:           fft_rtc_fwd_len1701_factors_3_3_3_3_3_7_wgs_63_tpt_63_halfLds_half_op_CI_CI_sbrr_dirReg
    .private_segment_fixed_size: 0
    .sgpr_count:     36
    .sgpr_spill_count: 0
    .symbol:         fft_rtc_fwd_len1701_factors_3_3_3_3_3_7_wgs_63_tpt_63_halfLds_half_op_CI_CI_sbrr_dirReg.kd
    .uniform_work_group_size: 1
    .uses_dynamic_stack: false
    .vgpr_count:     123
    .vgpr_spill_count: 0
    .wavefront_size: 64
amdhsa.target:   amdgcn-amd-amdhsa--gfx906
amdhsa.version:
  - 1
  - 2
...

	.end_amdgpu_metadata
